;; amdgpu-corpus repo=ROCm/rocSOLVER kind=compiled arch=gfx90a opt=O3
	.text
	.amdgcn_target "amdgcn-amd-amdhsa--gfx90a"
	.amdhsa_code_object_version 6
	.section	.text._ZN9rocsolver6v33100L6iota_nIfEEvPT_jS2_,"axG",@progbits,_ZN9rocsolver6v33100L6iota_nIfEEvPT_jS2_,comdat
	.globl	_ZN9rocsolver6v33100L6iota_nIfEEvPT_jS2_ ; -- Begin function _ZN9rocsolver6v33100L6iota_nIfEEvPT_jS2_
	.p2align	8
	.type	_ZN9rocsolver6v33100L6iota_nIfEEvPT_jS2_,@function
_ZN9rocsolver6v33100L6iota_nIfEEvPT_jS2_: ; @_ZN9rocsolver6v33100L6iota_nIfEEvPT_jS2_
; %bb.0:
	s_load_dwordx2 s[0:1], s[4:5], 0x8
	s_waitcnt lgkmcnt(0)
	v_cmp_gt_u32_e32 vcc, s0, v0
	s_and_saveexec_b64 s[2:3], vcc
	s_cbranch_execz .LBB0_2
; %bb.1:
	s_load_dwordx2 s[2:3], s[4:5], 0x0
	v_lshlrev_b32_e32 v1, 2, v0
	v_cvt_f32_ubyte0_e32 v0, v0
	v_add_f32_e32 v0, s1, v0
	s_waitcnt lgkmcnt(0)
	global_store_dword v1, v0, s[2:3]
.LBB0_2:
	s_endpgm
	.section	.rodata,"a",@progbits
	.p2align	6, 0x0
	.amdhsa_kernel _ZN9rocsolver6v33100L6iota_nIfEEvPT_jS2_
		.amdhsa_group_segment_fixed_size 0
		.amdhsa_private_segment_fixed_size 0
		.amdhsa_kernarg_size 16
		.amdhsa_user_sgpr_count 6
		.amdhsa_user_sgpr_private_segment_buffer 1
		.amdhsa_user_sgpr_dispatch_ptr 0
		.amdhsa_user_sgpr_queue_ptr 0
		.amdhsa_user_sgpr_kernarg_segment_ptr 1
		.amdhsa_user_sgpr_dispatch_id 0
		.amdhsa_user_sgpr_flat_scratch_init 0
		.amdhsa_user_sgpr_kernarg_preload_length 0
		.amdhsa_user_sgpr_kernarg_preload_offset 0
		.amdhsa_user_sgpr_private_segment_size 0
		.amdhsa_uses_dynamic_stack 0
		.amdhsa_system_sgpr_private_segment_wavefront_offset 0
		.amdhsa_system_sgpr_workgroup_id_x 1
		.amdhsa_system_sgpr_workgroup_id_y 0
		.amdhsa_system_sgpr_workgroup_id_z 0
		.amdhsa_system_sgpr_workgroup_info 0
		.amdhsa_system_vgpr_workitem_id 0
		.amdhsa_next_free_vgpr 2
		.amdhsa_next_free_sgpr 6
		.amdhsa_accum_offset 4
		.amdhsa_reserve_vcc 1
		.amdhsa_reserve_flat_scratch 0
		.amdhsa_float_round_mode_32 0
		.amdhsa_float_round_mode_16_64 0
		.amdhsa_float_denorm_mode_32 3
		.amdhsa_float_denorm_mode_16_64 3
		.amdhsa_dx10_clamp 1
		.amdhsa_ieee_mode 1
		.amdhsa_fp16_overflow 0
		.amdhsa_tg_split 0
		.amdhsa_exception_fp_ieee_invalid_op 0
		.amdhsa_exception_fp_denorm_src 0
		.amdhsa_exception_fp_ieee_div_zero 0
		.amdhsa_exception_fp_ieee_overflow 0
		.amdhsa_exception_fp_ieee_underflow 0
		.amdhsa_exception_fp_ieee_inexact 0
		.amdhsa_exception_int_div_zero 0
	.end_amdhsa_kernel
	.section	.text._ZN9rocsolver6v33100L6iota_nIfEEvPT_jS2_,"axG",@progbits,_ZN9rocsolver6v33100L6iota_nIfEEvPT_jS2_,comdat
.Lfunc_end0:
	.size	_ZN9rocsolver6v33100L6iota_nIfEEvPT_jS2_, .Lfunc_end0-_ZN9rocsolver6v33100L6iota_nIfEEvPT_jS2_
                                        ; -- End function
	.section	.AMDGPU.csdata,"",@progbits
; Kernel info:
; codeLenInByte = 60
; NumSgprs: 10
; NumVgprs: 2
; NumAgprs: 0
; TotalNumVgprs: 2
; ScratchSize: 0
; MemoryBound: 0
; FloatMode: 240
; IeeeMode: 1
; LDSByteSize: 0 bytes/workgroup (compile time only)
; SGPRBlocks: 1
; VGPRBlocks: 0
; NumSGPRsForWavesPerEU: 10
; NumVGPRsForWavesPerEU: 2
; AccumOffset: 4
; Occupancy: 8
; WaveLimiterHint : 0
; COMPUTE_PGM_RSRC2:SCRATCH_EN: 0
; COMPUTE_PGM_RSRC2:USER_SGPR: 6
; COMPUTE_PGM_RSRC2:TRAP_HANDLER: 0
; COMPUTE_PGM_RSRC2:TGID_X_EN: 1
; COMPUTE_PGM_RSRC2:TGID_Y_EN: 0
; COMPUTE_PGM_RSRC2:TGID_Z_EN: 0
; COMPUTE_PGM_RSRC2:TIDIG_COMP_CNT: 0
; COMPUTE_PGM_RSRC3_GFX90A:ACCUM_OFFSET: 0
; COMPUTE_PGM_RSRC3_GFX90A:TG_SPLIT: 0
	.section	.text._ZN9rocsolver6v33100L16reset_batch_infoIfiiPfEEvT2_lT0_T1_,"axG",@progbits,_ZN9rocsolver6v33100L16reset_batch_infoIfiiPfEEvT2_lT0_T1_,comdat
	.globl	_ZN9rocsolver6v33100L16reset_batch_infoIfiiPfEEvT2_lT0_T1_ ; -- Begin function _ZN9rocsolver6v33100L16reset_batch_infoIfiiPfEEvT2_lT0_T1_
	.p2align	8
	.type	_ZN9rocsolver6v33100L16reset_batch_infoIfiiPfEEvT2_lT0_T1_,@function
_ZN9rocsolver6v33100L16reset_batch_infoIfiiPfEEvT2_lT0_T1_: ; @_ZN9rocsolver6v33100L16reset_batch_infoIfiiPfEEvT2_lT0_T1_
; %bb.0:
	s_load_dword s2, s[4:5], 0x24
	s_load_dwordx2 s[0:1], s[4:5], 0x10
	s_waitcnt lgkmcnt(0)
	s_and_b32 s2, s2, 0xffff
	s_mul_i32 s6, s6, s2
	v_add_u32_e32 v0, s6, v0
	v_cmp_gt_i32_e32 vcc, s0, v0
	s_and_saveexec_b64 s[2:3], vcc
	s_cbranch_execz .LBB1_2
; %bb.1:
	s_load_dwordx4 s[8:11], s[4:5], 0x0
	s_ashr_i32 s0, s7, 31
	v_ashrrev_i32_e32 v1, 31, v0
	v_cvt_f32_i32_e32 v3, s1
	v_lshlrev_b64 v[0:1], 2, v[0:1]
	s_waitcnt lgkmcnt(0)
	s_mul_i32 s3, s7, s11
	s_mul_hi_u32 s4, s7, s10
	s_mul_i32 s0, s0, s10
	s_add_i32 s3, s4, s3
	s_mul_i32 s2, s7, s10
	s_add_i32 s3, s3, s0
	s_lshl_b64 s[2:3], s[2:3], 2
	s_add_u32 s0, s8, s2
	s_addc_u32 s2, s9, s3
	v_mov_b32_e32 v2, s2
	v_add_co_u32_e32 v0, vcc, s0, v0
	v_addc_co_u32_e32 v1, vcc, v2, v1, vcc
	global_store_dword v[0:1], v3, off
.LBB1_2:
	s_endpgm
	.section	.rodata,"a",@progbits
	.p2align	6, 0x0
	.amdhsa_kernel _ZN9rocsolver6v33100L16reset_batch_infoIfiiPfEEvT2_lT0_T1_
		.amdhsa_group_segment_fixed_size 0
		.amdhsa_private_segment_fixed_size 0
		.amdhsa_kernarg_size 280
		.amdhsa_user_sgpr_count 6
		.amdhsa_user_sgpr_private_segment_buffer 1
		.amdhsa_user_sgpr_dispatch_ptr 0
		.amdhsa_user_sgpr_queue_ptr 0
		.amdhsa_user_sgpr_kernarg_segment_ptr 1
		.amdhsa_user_sgpr_dispatch_id 0
		.amdhsa_user_sgpr_flat_scratch_init 0
		.amdhsa_user_sgpr_kernarg_preload_length 0
		.amdhsa_user_sgpr_kernarg_preload_offset 0
		.amdhsa_user_sgpr_private_segment_size 0
		.amdhsa_uses_dynamic_stack 0
		.amdhsa_system_sgpr_private_segment_wavefront_offset 0
		.amdhsa_system_sgpr_workgroup_id_x 1
		.amdhsa_system_sgpr_workgroup_id_y 1
		.amdhsa_system_sgpr_workgroup_id_z 0
		.amdhsa_system_sgpr_workgroup_info 0
		.amdhsa_system_vgpr_workitem_id 0
		.amdhsa_next_free_vgpr 4
		.amdhsa_next_free_sgpr 12
		.amdhsa_accum_offset 4
		.amdhsa_reserve_vcc 1
		.amdhsa_reserve_flat_scratch 0
		.amdhsa_float_round_mode_32 0
		.amdhsa_float_round_mode_16_64 0
		.amdhsa_float_denorm_mode_32 3
		.amdhsa_float_denorm_mode_16_64 3
		.amdhsa_dx10_clamp 1
		.amdhsa_ieee_mode 1
		.amdhsa_fp16_overflow 0
		.amdhsa_tg_split 0
		.amdhsa_exception_fp_ieee_invalid_op 0
		.amdhsa_exception_fp_denorm_src 0
		.amdhsa_exception_fp_ieee_div_zero 0
		.amdhsa_exception_fp_ieee_overflow 0
		.amdhsa_exception_fp_ieee_underflow 0
		.amdhsa_exception_fp_ieee_inexact 0
		.amdhsa_exception_int_div_zero 0
	.end_amdhsa_kernel
	.section	.text._ZN9rocsolver6v33100L16reset_batch_infoIfiiPfEEvT2_lT0_T1_,"axG",@progbits,_ZN9rocsolver6v33100L16reset_batch_infoIfiiPfEEvT2_lT0_T1_,comdat
.Lfunc_end1:
	.size	_ZN9rocsolver6v33100L16reset_batch_infoIfiiPfEEvT2_lT0_T1_, .Lfunc_end1-_ZN9rocsolver6v33100L16reset_batch_infoIfiiPfEEvT2_lT0_T1_
                                        ; -- End function
	.section	.AMDGPU.csdata,"",@progbits
; Kernel info:
; codeLenInByte = 140
; NumSgprs: 16
; NumVgprs: 4
; NumAgprs: 0
; TotalNumVgprs: 4
; ScratchSize: 0
; MemoryBound: 0
; FloatMode: 240
; IeeeMode: 1
; LDSByteSize: 0 bytes/workgroup (compile time only)
; SGPRBlocks: 1
; VGPRBlocks: 0
; NumSGPRsForWavesPerEU: 16
; NumVGPRsForWavesPerEU: 4
; AccumOffset: 4
; Occupancy: 8
; WaveLimiterHint : 0
; COMPUTE_PGM_RSRC2:SCRATCH_EN: 0
; COMPUTE_PGM_RSRC2:USER_SGPR: 6
; COMPUTE_PGM_RSRC2:TRAP_HANDLER: 0
; COMPUTE_PGM_RSRC2:TGID_X_EN: 1
; COMPUTE_PGM_RSRC2:TGID_Y_EN: 1
; COMPUTE_PGM_RSRC2:TGID_Z_EN: 0
; COMPUTE_PGM_RSRC2:TIDIG_COMP_CNT: 0
; COMPUTE_PGM_RSRC3_GFX90A:ACCUM_OFFSET: 0
; COMPUTE_PGM_RSRC3_GFX90A:TG_SPLIT: 0
	.section	.text._ZN9rocsolver6v33100L11set_taubetaIfifPKPfEEvPT_lS6_T2_llPT1_ll,"axG",@progbits,_ZN9rocsolver6v33100L11set_taubetaIfifPKPfEEvPT_lS6_T2_llPT1_ll,comdat
	.globl	_ZN9rocsolver6v33100L11set_taubetaIfifPKPfEEvPT_lS6_T2_llPT1_ll ; -- Begin function _ZN9rocsolver6v33100L11set_taubetaIfifPKPfEEvPT_lS6_T2_llPT1_ll
	.p2align	8
	.type	_ZN9rocsolver6v33100L11set_taubetaIfifPKPfEEvPT_lS6_T2_llPT1_ll,@function
_ZN9rocsolver6v33100L11set_taubetaIfifPKPfEEvPT_lS6_T2_llPT1_ll: ; @_ZN9rocsolver6v33100L11set_taubetaIfifPKPfEEvPT_lS6_T2_llPT1_ll
; %bb.0:
	s_load_dwordx8 s[8:15], s[4:5], 0x0
	s_load_dwordx2 s[18:19], s[4:5], 0x20
	s_load_dwordx4 s[0:3], s[4:5], 0x30
	s_ashr_i32 s7, s6, 31
	s_lshl_b64 s[16:17], s[6:7], 3
	s_waitcnt lgkmcnt(0)
	s_add_u32 s14, s14, s16
	s_addc_u32 s15, s15, s17
	s_load_dwordx2 s[20:21], s[14:15], 0x0
	s_mov_b64 s[16:17], 0
	s_cmp_eq_u64 s[0:1], 0
	s_mov_b64 s[14:15], 0
	s_cbranch_scc1 .LBB2_2
; %bb.1:
	s_load_dwordx2 s[4:5], s[4:5], 0x40
	s_waitcnt lgkmcnt(0)
	s_mul_i32 s5, s6, s5
	s_mul_hi_u32 s14, s6, s4
	s_mul_i32 s15, s7, s4
	s_add_i32 s5, s14, s5
	s_mul_i32 s4, s6, s4
	s_add_i32 s5, s5, s15
	s_lshl_b64 s[4:5], s[4:5], 2
	s_add_u32 s4, s0, s4
	s_addc_u32 s5, s1, s5
	s_lshl_b64 s[0:1], s[2:3], 2
	s_add_u32 s14, s4, s0
	s_addc_u32 s15, s5, s1
.LBB2_2:
	s_lshl_b64 s[0:1], s[18:19], 2
	s_waitcnt lgkmcnt(0)
	s_add_u32 s2, s20, s0
	s_addc_u32 s3, s21, s1
	s_mul_i32 s0, s6, s11
	s_mul_hi_u32 s1, s6, s10
	s_add_i32 s0, s1, s0
	s_mul_i32 s1, s7, s10
	s_add_i32 s1, s0, s1
	s_mul_i32 s0, s6, s10
	s_lshl_b64 s[0:1], s[0:1], 2
	s_add_u32 s8, s8, s0
	s_addc_u32 s9, s9, s1
	s_lshl_b64 s[0:1], s[6:7], 2
	s_add_u32 s10, s12, s0
	s_addc_u32 s11, s13, s1
	s_load_dword s12, s[10:11], 0x0
	s_cmp_eq_u64 s[14:15], 0
	s_cselect_b64 s[4:5], -1, 0
	s_cmp_lg_u64 s[14:15], 0
	s_cselect_b64 s[6:7], -1, 0
	s_waitcnt lgkmcnt(0)
	v_cmp_ngt_f32_e64 s[0:1], s12, 0
	s_and_b64 vcc, exec, s[0:1]
	s_cbranch_vccz .LBB2_6
; %bb.3:
	v_mov_b32_e32 v1, 1.0
	v_mov_b32_e32 v0, 0
	s_mov_b64 s[0:1], 0
	s_and_b64 vcc, exec, s[6:7]
	global_store_dword v0, v1, s[10:11]
	global_store_dword v0, v0, s[8:9]
	s_cbranch_vccz .LBB2_7
; %bb.4:
	global_load_dword v0, v0, s[2:3]
	s_mov_b64 s[16:17], -1
	s_and_b64 vcc, exec, s[0:1]
	s_cbranch_vccnz .LBB2_8
.LBB2_5:
	s_mov_b64 s[4:5], 0
	s_andn2_b64 vcc, exec, s[16:17]
	s_cbranch_vccz .LBB2_9
	s_branch .LBB2_10
.LBB2_6:
	s_mov_b64 s[0:1], -1
.LBB2_7:
                                        ; implicit-def: $vgpr0
	s_and_b64 vcc, exec, s[0:1]
	s_cbranch_vccz .LBB2_5
.LBB2_8:
	s_load_dword s13, s[2:3], 0x0
	s_waitcnt vmcnt(0)
	v_mov_b32_e32 v0, s12
	s_mov_b32 s0, 0xf800000
	s_mov_b64 s[16:17], s[6:7]
	s_waitcnt lgkmcnt(0)
	v_fmac_f32_e64 v0, s13, s13
	v_mul_f32_e32 v1, 0x4f800000, v0
	v_cmp_gt_f32_e32 vcc, s0, v0
	v_cndmask_b32_e32 v0, v0, v1, vcc
	v_sqrt_f32_e32 v1, v0
	v_add_u32_e32 v2, -1, v1
	v_add_u32_e32 v3, 1, v1
	v_fma_f32 v4, -v2, v1, v0
	v_fma_f32 v5, -v3, v1, v0
	v_cmp_ge_f32_e64 s[0:1], 0, v4
	v_cndmask_b32_e64 v1, v1, v2, s[0:1]
	v_cmp_lt_f32_e64 s[0:1], 0, v5
	v_cndmask_b32_e64 v1, v1, v3, s[0:1]
	v_mul_f32_e32 v2, 0x37800000, v1
	v_cndmask_b32_e32 v1, v1, v2, vcc
	v_mov_b32_e32 v2, 0x260
	v_cmp_class_f32_e32 vcc, v0, v2
	v_cndmask_b32_e32 v0, v1, v0, vcc
	v_cmp_ge_f32_e64 s[0:1], s13, 0
	v_cndmask_b32_e64 v0, v0, -v0, s[0:1]
	v_sub_f32_e32 v1, s13, v0
	v_div_scale_f32 v2, s[0:1], v1, v1, 1.0
	v_rcp_f32_e32 v3, v2
	v_mov_b32_e32 v4, 0
	v_fma_f32 v5, -v2, v3, 1.0
	v_fmac_f32_e32 v3, v5, v3
	v_div_scale_f32 v5, vcc, 1.0, v1, 1.0
	v_mul_f32_e32 v6, v5, v3
	v_fma_f32 v7, -v2, v6, v5
	v_fmac_f32_e32 v6, v7, v3
	v_fma_f32 v2, -v2, v6, v5
	v_div_fmas_f32 v2, v2, v3, v6
	v_div_fixup_f32 v1, v2, v1, 1.0
	global_store_dword v4, v1, s[10:11]
	global_load_dword v1, v4, s[2:3]
	s_waitcnt vmcnt(0)
	v_sub_f32_e32 v1, v0, v1
	v_div_scale_f32 v2, s[0:1], v0, v0, v1
	v_rcp_f32_e32 v3, v2
	v_div_scale_f32 v5, vcc, v1, v0, v1
	v_fma_f32 v6, -v2, v3, 1.0
	v_fmac_f32_e32 v3, v6, v3
	v_mul_f32_e32 v6, v5, v3
	v_fma_f32 v7, -v2, v6, v5
	v_fmac_f32_e32 v6, v7, v3
	v_fma_f32 v2, -v2, v6, v5
	v_div_fmas_f32 v2, v2, v3, v6
	v_div_fixup_f32 v1, v2, v0, v1
	global_store_dword v4, v1, s[8:9]
	s_andn2_b64 vcc, exec, s[16:17]
	s_cbranch_vccnz .LBB2_10
.LBB2_9:
	v_pk_mov_b32 v[2:3], s[14:15], s[14:15] op_sel:[0,1]
	s_waitcnt vmcnt(0)
	flat_store_dword v[2:3], v0
	s_mov_b64 s[4:5], -1
	v_mov_b32_e32 v0, 1.0
.LBB2_10:
	s_andn2_b64 vcc, exec, s[4:5]
	s_cbranch_vccz .LBB2_12
; %bb.11:
	s_endpgm
.LBB2_12:
	v_mov_b32_e32 v1, 0
	s_waitcnt vmcnt(0) lgkmcnt(0)
	global_store_dword v1, v0, s[2:3]
	s_endpgm
	.section	.rodata,"a",@progbits
	.p2align	6, 0x0
	.amdhsa_kernel _ZN9rocsolver6v33100L11set_taubetaIfifPKPfEEvPT_lS6_T2_llPT1_ll
		.amdhsa_group_segment_fixed_size 0
		.amdhsa_private_segment_fixed_size 0
		.amdhsa_kernarg_size 72
		.amdhsa_user_sgpr_count 6
		.amdhsa_user_sgpr_private_segment_buffer 1
		.amdhsa_user_sgpr_dispatch_ptr 0
		.amdhsa_user_sgpr_queue_ptr 0
		.amdhsa_user_sgpr_kernarg_segment_ptr 1
		.amdhsa_user_sgpr_dispatch_id 0
		.amdhsa_user_sgpr_flat_scratch_init 0
		.amdhsa_user_sgpr_kernarg_preload_length 0
		.amdhsa_user_sgpr_kernarg_preload_offset 0
		.amdhsa_user_sgpr_private_segment_size 0
		.amdhsa_uses_dynamic_stack 0
		.amdhsa_system_sgpr_private_segment_wavefront_offset 0
		.amdhsa_system_sgpr_workgroup_id_x 1
		.amdhsa_system_sgpr_workgroup_id_y 0
		.amdhsa_system_sgpr_workgroup_id_z 0
		.amdhsa_system_sgpr_workgroup_info 0
		.amdhsa_system_vgpr_workitem_id 0
		.amdhsa_next_free_vgpr 8
		.amdhsa_next_free_sgpr 22
		.amdhsa_accum_offset 8
		.amdhsa_reserve_vcc 1
		.amdhsa_reserve_flat_scratch 0
		.amdhsa_float_round_mode_32 0
		.amdhsa_float_round_mode_16_64 0
		.amdhsa_float_denorm_mode_32 3
		.amdhsa_float_denorm_mode_16_64 3
		.amdhsa_dx10_clamp 1
		.amdhsa_ieee_mode 1
		.amdhsa_fp16_overflow 0
		.amdhsa_tg_split 0
		.amdhsa_exception_fp_ieee_invalid_op 0
		.amdhsa_exception_fp_denorm_src 0
		.amdhsa_exception_fp_ieee_div_zero 0
		.amdhsa_exception_fp_ieee_overflow 0
		.amdhsa_exception_fp_ieee_underflow 0
		.amdhsa_exception_fp_ieee_inexact 0
		.amdhsa_exception_int_div_zero 0
	.end_amdhsa_kernel
	.section	.text._ZN9rocsolver6v33100L11set_taubetaIfifPKPfEEvPT_lS6_T2_llPT1_ll,"axG",@progbits,_ZN9rocsolver6v33100L11set_taubetaIfifPKPfEEvPT_lS6_T2_llPT1_ll,comdat
.Lfunc_end2:
	.size	_ZN9rocsolver6v33100L11set_taubetaIfifPKPfEEvPT_lS6_T2_llPT1_ll, .Lfunc_end2-_ZN9rocsolver6v33100L11set_taubetaIfifPKPfEEvPT_lS6_T2_llPT1_ll
                                        ; -- End function
	.section	.AMDGPU.csdata,"",@progbits
; Kernel info:
; codeLenInByte = 732
; NumSgprs: 26
; NumVgprs: 8
; NumAgprs: 0
; TotalNumVgprs: 8
; ScratchSize: 0
; MemoryBound: 0
; FloatMode: 240
; IeeeMode: 1
; LDSByteSize: 0 bytes/workgroup (compile time only)
; SGPRBlocks: 3
; VGPRBlocks: 0
; NumSGPRsForWavesPerEU: 26
; NumVGPRsForWavesPerEU: 8
; AccumOffset: 8
; Occupancy: 8
; WaveLimiterHint : 1
; COMPUTE_PGM_RSRC2:SCRATCH_EN: 0
; COMPUTE_PGM_RSRC2:USER_SGPR: 6
; COMPUTE_PGM_RSRC2:TRAP_HANDLER: 0
; COMPUTE_PGM_RSRC2:TGID_X_EN: 1
; COMPUTE_PGM_RSRC2:TGID_Y_EN: 0
; COMPUTE_PGM_RSRC2:TGID_Z_EN: 0
; COMPUTE_PGM_RSRC2:TIDIG_COMP_CNT: 0
; COMPUTE_PGM_RSRC3_GFX90A:ACCUM_OFFSET: 1
; COMPUTE_PGM_RSRC3_GFX90A:TG_SPLIT: 0
	.section	.text._ZN9rocsolver6v33100L8set_diagIfifPKPfTnNSt9enable_ifIXoont18rocblas_is_complexIT_E18rocblas_is_complexIT1_EEiE4typeELi0EEEvPS7_llT2_lT0_lSC_b,"axG",@progbits,_ZN9rocsolver6v33100L8set_diagIfifPKPfTnNSt9enable_ifIXoont18rocblas_is_complexIT_E18rocblas_is_complexIT1_EEiE4typeELi0EEEvPS7_llT2_lT0_lSC_b,comdat
	.globl	_ZN9rocsolver6v33100L8set_diagIfifPKPfTnNSt9enable_ifIXoont18rocblas_is_complexIT_E18rocblas_is_complexIT1_EEiE4typeELi0EEEvPS7_llT2_lT0_lSC_b ; -- Begin function _ZN9rocsolver6v33100L8set_diagIfifPKPfTnNSt9enable_ifIXoont18rocblas_is_complexIT_E18rocblas_is_complexIT1_EEiE4typeELi0EEEvPS7_llT2_lT0_lSC_b
	.p2align	8
	.type	_ZN9rocsolver6v33100L8set_diagIfifPKPfTnNSt9enable_ifIXoont18rocblas_is_complexIT_E18rocblas_is_complexIT1_EEiE4typeELi0EEEvPS7_llT2_lT0_lSC_b,@function
_ZN9rocsolver6v33100L8set_diagIfifPKPfTnNSt9enable_ifIXoont18rocblas_is_complexIT_E18rocblas_is_complexIT1_EEiE4typeELi0EEEvPS7_llT2_lT0_lSC_b: ; @_ZN9rocsolver6v33100L8set_diagIfifPKPfTnNSt9enable_ifIXoont18rocblas_is_complexIT_E18rocblas_is_complexIT1_EEiE4typeELi0EEEvPS7_llT2_lT0_lSC_b
; %bb.0:
	s_load_dword s2, s[4:5], 0x4c
	s_load_dwordx2 s[0:1], s[4:5], 0x38
	v_bfe_u32 v0, v0, 10, 10
	s_waitcnt lgkmcnt(0)
	s_lshr_b32 s2, s2, 16
	s_mul_i32 s7, s7, s2
	v_add_u32_e32 v0, s7, v0
	v_cmp_gt_i32_e32 vcc, s0, v0
	s_and_saveexec_b64 s[2:3], vcc
	s_cbranch_execz .LBB3_2
; %bb.1:
	s_load_dwordx8 s[8:15], s[4:5], 0x0
	s_bitcmp1_b32 s1, 0
	s_cselect_b64 s[0:1], -1, 0
	s_ashr_i32 s7, s6, 31
	s_lshl_b64 s[2:3], s[6:7], 3
	s_waitcnt lgkmcnt(0)
	s_add_u32 s2, s14, s2
	s_addc_u32 s3, s15, s3
	s_load_dwordx2 s[14:15], s[4:5], 0x20
	s_load_dwordx2 s[16:17], s[2:3], 0x0
	s_load_dword s18, s[4:5], 0x28
	s_waitcnt lgkmcnt(0)
	s_lshl_b64 s[2:3], s[14:15], 2
	s_add_u32 s4, s16, s2
	s_addc_u32 s5, s17, s3
	v_mad_u64_u32 v[2:3], s[2:3], v0, s18, v[0:1]
	v_ashrrev_i32_e32 v3, 31, v2
	v_lshlrev_b64 v[2:3], 2, v[2:3]
	v_mov_b32_e32 v1, s5
	v_add_co_u32_e32 v2, vcc, s4, v2
	v_addc_co_u32_e32 v3, vcc, v1, v3, vcc
	global_load_dword v4, v[2:3], off
	s_mul_i32 s3, s6, s13
	s_mul_hi_u32 s4, s6, s12
	s_mul_i32 s5, s7, s12
	s_add_i32 s3, s4, s3
	s_mul_i32 s2, s6, s12
	s_add_i32 s3, s3, s5
	s_lshl_b64 s[2:3], s[2:3], 2
	s_add_u32 s4, s8, s2
	s_addc_u32 s5, s9, s3
	s_lshl_b64 s[2:3], s[10:11], 2
	v_ashrrev_i32_e32 v1, 31, v0
	s_add_u32 s2, s4, s2
	v_lshlrev_b64 v[0:1], 2, v[0:1]
	s_addc_u32 s3, s5, s3
	v_mov_b32_e32 v5, s3
	v_add_co_u32_e32 v0, vcc, s2, v0
	v_addc_co_u32_e32 v1, vcc, v5, v1, vcc
	s_waitcnt vmcnt(0)
	global_store_dword v[0:1], v4, off
	v_cndmask_b32_e64 v0, v4, 1.0, s[0:1]
	global_store_dword v[2:3], v0, off
.LBB3_2:
	s_endpgm
	.section	.rodata,"a",@progbits
	.p2align	6, 0x0
	.amdhsa_kernel _ZN9rocsolver6v33100L8set_diagIfifPKPfTnNSt9enable_ifIXoont18rocblas_is_complexIT_E18rocblas_is_complexIT1_EEiE4typeELi0EEEvPS7_llT2_lT0_lSC_b
		.amdhsa_group_segment_fixed_size 0
		.amdhsa_private_segment_fixed_size 0
		.amdhsa_kernarg_size 320
		.amdhsa_user_sgpr_count 6
		.amdhsa_user_sgpr_private_segment_buffer 1
		.amdhsa_user_sgpr_dispatch_ptr 0
		.amdhsa_user_sgpr_queue_ptr 0
		.amdhsa_user_sgpr_kernarg_segment_ptr 1
		.amdhsa_user_sgpr_dispatch_id 0
		.amdhsa_user_sgpr_flat_scratch_init 0
		.amdhsa_user_sgpr_kernarg_preload_length 0
		.amdhsa_user_sgpr_kernarg_preload_offset 0
		.amdhsa_user_sgpr_private_segment_size 0
		.amdhsa_uses_dynamic_stack 0
		.amdhsa_system_sgpr_private_segment_wavefront_offset 0
		.amdhsa_system_sgpr_workgroup_id_x 1
		.amdhsa_system_sgpr_workgroup_id_y 1
		.amdhsa_system_sgpr_workgroup_id_z 0
		.amdhsa_system_sgpr_workgroup_info 0
		.amdhsa_system_vgpr_workitem_id 1
		.amdhsa_next_free_vgpr 6
		.amdhsa_next_free_sgpr 19
		.amdhsa_accum_offset 8
		.amdhsa_reserve_vcc 1
		.amdhsa_reserve_flat_scratch 0
		.amdhsa_float_round_mode_32 0
		.amdhsa_float_round_mode_16_64 0
		.amdhsa_float_denorm_mode_32 3
		.amdhsa_float_denorm_mode_16_64 3
		.amdhsa_dx10_clamp 1
		.amdhsa_ieee_mode 1
		.amdhsa_fp16_overflow 0
		.amdhsa_tg_split 0
		.amdhsa_exception_fp_ieee_invalid_op 0
		.amdhsa_exception_fp_denorm_src 0
		.amdhsa_exception_fp_ieee_div_zero 0
		.amdhsa_exception_fp_ieee_overflow 0
		.amdhsa_exception_fp_ieee_underflow 0
		.amdhsa_exception_fp_ieee_inexact 0
		.amdhsa_exception_int_div_zero 0
	.end_amdhsa_kernel
	.section	.text._ZN9rocsolver6v33100L8set_diagIfifPKPfTnNSt9enable_ifIXoont18rocblas_is_complexIT_E18rocblas_is_complexIT1_EEiE4typeELi0EEEvPS7_llT2_lT0_lSC_b,"axG",@progbits,_ZN9rocsolver6v33100L8set_diagIfifPKPfTnNSt9enable_ifIXoont18rocblas_is_complexIT_E18rocblas_is_complexIT1_EEiE4typeELi0EEEvPS7_llT2_lT0_lSC_b,comdat
.Lfunc_end3:
	.size	_ZN9rocsolver6v33100L8set_diagIfifPKPfTnNSt9enable_ifIXoont18rocblas_is_complexIT_E18rocblas_is_complexIT1_EEiE4typeELi0EEEvPS7_llT2_lT0_lSC_b, .Lfunc_end3-_ZN9rocsolver6v33100L8set_diagIfifPKPfTnNSt9enable_ifIXoont18rocblas_is_complexIT_E18rocblas_is_complexIT1_EEiE4typeELi0EEEvPS7_llT2_lT0_lSC_b
                                        ; -- End function
	.section	.AMDGPU.csdata,"",@progbits
; Kernel info:
; codeLenInByte = 272
; NumSgprs: 23
; NumVgprs: 6
; NumAgprs: 0
; TotalNumVgprs: 6
; ScratchSize: 0
; MemoryBound: 0
; FloatMode: 240
; IeeeMode: 1
; LDSByteSize: 0 bytes/workgroup (compile time only)
; SGPRBlocks: 2
; VGPRBlocks: 0
; NumSGPRsForWavesPerEU: 23
; NumVGPRsForWavesPerEU: 6
; AccumOffset: 8
; Occupancy: 8
; WaveLimiterHint : 1
; COMPUTE_PGM_RSRC2:SCRATCH_EN: 0
; COMPUTE_PGM_RSRC2:USER_SGPR: 6
; COMPUTE_PGM_RSRC2:TRAP_HANDLER: 0
; COMPUTE_PGM_RSRC2:TGID_X_EN: 1
; COMPUTE_PGM_RSRC2:TGID_Y_EN: 1
; COMPUTE_PGM_RSRC2:TGID_Z_EN: 0
; COMPUTE_PGM_RSRC2:TIDIG_COMP_CNT: 1
; COMPUTE_PGM_RSRC3_GFX90A:ACCUM_OFFSET: 1
; COMPUTE_PGM_RSRC3_GFX90A:TG_SPLIT: 0
	.section	.text._ZN9rocsolver6v33100L13conj_in_placeIfiPfTnNSt9enable_ifIXnt18rocblas_is_complexIT_EEiE4typeELi0EEEvT0_S7_T1_lS7_l,"axG",@progbits,_ZN9rocsolver6v33100L13conj_in_placeIfiPfTnNSt9enable_ifIXnt18rocblas_is_complexIT_EEiE4typeELi0EEEvT0_S7_T1_lS7_l,comdat
	.globl	_ZN9rocsolver6v33100L13conj_in_placeIfiPfTnNSt9enable_ifIXnt18rocblas_is_complexIT_EEiE4typeELi0EEEvT0_S7_T1_lS7_l ; -- Begin function _ZN9rocsolver6v33100L13conj_in_placeIfiPfTnNSt9enable_ifIXnt18rocblas_is_complexIT_EEiE4typeELi0EEEvT0_S7_T1_lS7_l
	.p2align	8
	.type	_ZN9rocsolver6v33100L13conj_in_placeIfiPfTnNSt9enable_ifIXnt18rocblas_is_complexIT_EEiE4typeELi0EEEvT0_S7_T1_lS7_l,@function
_ZN9rocsolver6v33100L13conj_in_placeIfiPfTnNSt9enable_ifIXnt18rocblas_is_complexIT_EEiE4typeELi0EEEvT0_S7_T1_lS7_l: ; @_ZN9rocsolver6v33100L13conj_in_placeIfiPfTnNSt9enable_ifIXnt18rocblas_is_complexIT_EEiE4typeELi0EEEvT0_S7_T1_lS7_l
; %bb.0:
	s_endpgm
	.section	.rodata,"a",@progbits
	.p2align	6, 0x0
	.amdhsa_kernel _ZN9rocsolver6v33100L13conj_in_placeIfiPfTnNSt9enable_ifIXnt18rocblas_is_complexIT_EEiE4typeELi0EEEvT0_S7_T1_lS7_l
		.amdhsa_group_segment_fixed_size 0
		.amdhsa_private_segment_fixed_size 0
		.amdhsa_kernarg_size 40
		.amdhsa_user_sgpr_count 6
		.amdhsa_user_sgpr_private_segment_buffer 1
		.amdhsa_user_sgpr_dispatch_ptr 0
		.amdhsa_user_sgpr_queue_ptr 0
		.amdhsa_user_sgpr_kernarg_segment_ptr 1
		.amdhsa_user_sgpr_dispatch_id 0
		.amdhsa_user_sgpr_flat_scratch_init 0
		.amdhsa_user_sgpr_kernarg_preload_length 0
		.amdhsa_user_sgpr_kernarg_preload_offset 0
		.amdhsa_user_sgpr_private_segment_size 0
		.amdhsa_uses_dynamic_stack 0
		.amdhsa_system_sgpr_private_segment_wavefront_offset 0
		.amdhsa_system_sgpr_workgroup_id_x 1
		.amdhsa_system_sgpr_workgroup_id_y 0
		.amdhsa_system_sgpr_workgroup_id_z 0
		.amdhsa_system_sgpr_workgroup_info 0
		.amdhsa_system_vgpr_workitem_id 0
		.amdhsa_next_free_vgpr 1
		.amdhsa_next_free_sgpr 0
		.amdhsa_accum_offset 4
		.amdhsa_reserve_vcc 0
		.amdhsa_reserve_flat_scratch 0
		.amdhsa_float_round_mode_32 0
		.amdhsa_float_round_mode_16_64 0
		.amdhsa_float_denorm_mode_32 3
		.amdhsa_float_denorm_mode_16_64 3
		.amdhsa_dx10_clamp 1
		.amdhsa_ieee_mode 1
		.amdhsa_fp16_overflow 0
		.amdhsa_tg_split 0
		.amdhsa_exception_fp_ieee_invalid_op 0
		.amdhsa_exception_fp_denorm_src 0
		.amdhsa_exception_fp_ieee_div_zero 0
		.amdhsa_exception_fp_ieee_overflow 0
		.amdhsa_exception_fp_ieee_underflow 0
		.amdhsa_exception_fp_ieee_inexact 0
		.amdhsa_exception_int_div_zero 0
	.end_amdhsa_kernel
	.section	.text._ZN9rocsolver6v33100L13conj_in_placeIfiPfTnNSt9enable_ifIXnt18rocblas_is_complexIT_EEiE4typeELi0EEEvT0_S7_T1_lS7_l,"axG",@progbits,_ZN9rocsolver6v33100L13conj_in_placeIfiPfTnNSt9enable_ifIXnt18rocblas_is_complexIT_EEiE4typeELi0EEEvT0_S7_T1_lS7_l,comdat
.Lfunc_end4:
	.size	_ZN9rocsolver6v33100L13conj_in_placeIfiPfTnNSt9enable_ifIXnt18rocblas_is_complexIT_EEiE4typeELi0EEEvT0_S7_T1_lS7_l, .Lfunc_end4-_ZN9rocsolver6v33100L13conj_in_placeIfiPfTnNSt9enable_ifIXnt18rocblas_is_complexIT_EEiE4typeELi0EEEvT0_S7_T1_lS7_l
                                        ; -- End function
	.section	.AMDGPU.csdata,"",@progbits
; Kernel info:
; codeLenInByte = 4
; NumSgprs: 4
; NumVgprs: 0
; NumAgprs: 0
; TotalNumVgprs: 0
; ScratchSize: 0
; MemoryBound: 0
; FloatMode: 240
; IeeeMode: 1
; LDSByteSize: 0 bytes/workgroup (compile time only)
; SGPRBlocks: 0
; VGPRBlocks: 0
; NumSGPRsForWavesPerEU: 4
; NumVGPRsForWavesPerEU: 1
; AccumOffset: 4
; Occupancy: 8
; WaveLimiterHint : 0
; COMPUTE_PGM_RSRC2:SCRATCH_EN: 0
; COMPUTE_PGM_RSRC2:USER_SGPR: 6
; COMPUTE_PGM_RSRC2:TRAP_HANDLER: 0
; COMPUTE_PGM_RSRC2:TGID_X_EN: 1
; COMPUTE_PGM_RSRC2:TGID_Y_EN: 0
; COMPUTE_PGM_RSRC2:TGID_Z_EN: 0
; COMPUTE_PGM_RSRC2:TIDIG_COMP_CNT: 0
; COMPUTE_PGM_RSRC3_GFX90A:ACCUM_OFFSET: 0
; COMPUTE_PGM_RSRC3_GFX90A:TG_SPLIT: 0
	.section	.text._ZN9rocsolver6v33100L16larf_left_kernelILi1024EfiPKPfEEvT1_S5_T2_lS5_lPKT0_lS6_lS5_l,"axG",@progbits,_ZN9rocsolver6v33100L16larf_left_kernelILi1024EfiPKPfEEvT1_S5_T2_lS5_lPKT0_lS6_lS5_l,comdat
	.globl	_ZN9rocsolver6v33100L16larf_left_kernelILi1024EfiPKPfEEvT1_S5_T2_lS5_lPKT0_lS6_lS5_l ; -- Begin function _ZN9rocsolver6v33100L16larf_left_kernelILi1024EfiPKPfEEvT1_S5_T2_lS5_lPKT0_lS6_lS5_l
	.p2align	8
	.type	_ZN9rocsolver6v33100L16larf_left_kernelILi1024EfiPKPfEEvT1_S5_T2_lS5_lPKT0_lS6_lS5_l,@function
_ZN9rocsolver6v33100L16larf_left_kernelILi1024EfiPKPfEEvT1_S5_T2_lS5_lPKT0_lS6_lS5_l: ; @_ZN9rocsolver6v33100L16larf_left_kernelILi1024EfiPKPfEEvT1_S5_T2_lS5_lPKT0_lS6_lS5_l
; %bb.0:
	s_load_dwordx8 s[12:19], s[4:5], 0x28
	s_load_dword s28, s[4:5], 0x0
	s_load_dword s6, s[4:5], 0x48
	s_ashr_i32 s9, s8, 31
	s_lshl_b64 s[24:25], s[8:9], 3
	s_waitcnt lgkmcnt(0)
	s_add_u32 s0, s16, s24
	s_addc_u32 s1, s17, s25
	s_load_dwordx2 s[2:3], s[0:1], 0x0
	s_mul_hi_i32 s11, s6, s7
	s_mul_i32 s10, s6, s7
	v_cmp_gt_i32_e64 s[0:1], s28, v0
	v_mov_b32_e32 v1, 0
	v_xad_u32 v4, v0, -1, s28
	s_and_saveexec_b64 s[6:7], s[0:1]
	s_cbranch_execz .LBB5_11
; %bb.1:
	s_load_dword s16, s[4:5], 0x18
	s_load_dwordx4 s[20:23], s[4:5], 0x8
	s_sub_i32 s4, 1, s28
	v_mov_b32_e32 v1, v0
	s_waitcnt lgkmcnt(0)
	s_ashr_i32 s17, s16, 31
	s_mul_i32 s26, s4, s16
	v_cmp_lt_i64_e64 s[4:5], s[16:17], 1
	s_and_b64 s[4:5], s[4:5], exec
	s_cselect_b32 s4, s26, 0
	s_ashr_i32 s5, s4, 31
	s_add_u32 s20, s20, s24
	s_addc_u32 s21, s21, s25
	s_load_dwordx2 s[20:21], s[20:21], 0x0
	s_movk_i32 s24, 0x3ff
	v_cmp_lt_u32_e32 vcc, s24, v4
	s_mov_b64 s[26:27], -1
	s_and_saveexec_b64 s[24:25], vcc
	s_cbranch_execz .LBB5_5
; %bb.2:
	s_lshl_b64 s[26:27], s[22:23], 2
	s_waitcnt lgkmcnt(0)
	s_add_u32 s29, s20, s26
	s_addc_u32 s30, s21, s27
	s_lshl_b64 s[26:27], s[4:5], 2
	v_lshrrev_b32_e32 v1, 10, v4
	s_add_u32 s29, s29, s26
	v_add_u32_e32 v5, 1, v1
	s_addc_u32 s33, s30, s27
	v_and_b32_e32 v6, 0x7ffffe, v5
	v_or_b32_e32 v1, 0x400, v0
	v_lshlrev_b32_e32 v2, 2, v0
	s_mov_b32 s30, s16
	s_mov_b32 s31, s17
	v_add3_u32 v7, v2, 0, 64
	s_mov_b64 s[26:27], 0
	v_mov_b32_e32 v8, s33
	v_mov_b32_e32 v9, v6
	v_pk_mov_b32 v[2:3], v[0:1], v[0:1] op_sel:[0,1]
.LBB5_3:                                ; =>This Inner Loop Header: Depth=1
	v_mad_u64_u32 v[12:13], s[34:35], s16, v2, 0
	v_mov_b32_e32 v16, v13
	v_mad_u64_u32 v[10:11], s[34:35], s30, v3, 0
	v_mad_u64_u32 v[16:17], s[34:35], s17, v2, v[16:17]
	v_mov_b32_e32 v14, v11
	v_mov_b32_e32 v13, v16
	v_mad_u64_u32 v[14:15], s[34:35], s31, v3, v[14:15]
	v_lshlrev_b64 v[12:13], 2, v[12:13]
	v_mov_b32_e32 v11, v14
	v_add_co_u32_e32 v12, vcc, s29, v12
	v_lshlrev_b64 v[10:11], 2, v[10:11]
	v_addc_co_u32_e32 v13, vcc, v8, v13, vcc
	v_add_co_u32_e32 v10, vcc, s29, v10
	v_addc_co_u32_e32 v11, vcc, v8, v11, vcc
	global_load_dword v1, v[12:13], off
	global_load_dword v14, v[10:11], off
	v_add_u32_e32 v9, -2, v9
	v_cmp_eq_u32_e32 vcc, 0, v9
	v_add_u32_e32 v3, 0x800, v3
	v_add_u32_e32 v2, 0x800, v2
	s_or_b64 s[26:27], vcc, s[26:27]
	s_waitcnt vmcnt(0)
	ds_write2st64_b32 v7, v1, v14 offset1:16
	v_add_u32_e32 v7, 0x2000, v7
	s_andn2_b64 exec, exec, s[26:27]
	s_cbranch_execnz .LBB5_3
; %bb.4:
	s_or_b64 exec, exec, s[26:27]
	v_cmp_ne_u32_e32 vcc, v5, v6
	v_lshl_or_b32 v1, v6, 10, v0
	s_orn2_b64 s[26:27], vcc, exec
.LBB5_5:
	s_or_b64 exec, exec, s[24:25]
	s_and_saveexec_b64 s[24:25], s[26:27]
	s_cbranch_execz .LBB5_8
; %bb.6:
	v_lshlrev_b32_e32 v2, 2, v1
	v_add3_u32 v5, v2, 0, 64
	v_mad_u64_u32 v[2:3], s[26:27], s16, v1, 0
	s_lshl_b64 s[22:23], s[22:23], 2
	s_lshl_b64 s[4:5], s[4:5], 2
	v_mov_b32_e32 v6, v3
	s_waitcnt lgkmcnt(0)
	s_add_u32 s4, s20, s4
	v_mad_u64_u32 v[6:7], s[26:27], s17, v1, v[6:7]
	s_addc_u32 s5, s21, s5
	v_mov_b32_e32 v3, v6
	s_add_u32 s4, s4, s22
	v_lshlrev_b64 v[2:3], 2, v[2:3]
	s_addc_u32 s5, s5, s23
	v_mov_b32_e32 v6, s5
	v_add_co_u32_e32 v2, vcc, s4, v2
	s_lshl_b64 s[4:5], s[16:17], 12
	v_addc_co_u32_e32 v3, vcc, v6, v3, vcc
	s_mov_b64 s[16:17], 0
	v_mov_b32_e32 v6, s5
.LBB5_7:                                ; =>This Inner Loop Header: Depth=1
	global_load_dword v7, v[2:3], off
	v_add_co_u32_e32 v2, vcc, s4, v2
	v_add_u32_e32 v1, 0x400, v1
	v_addc_co_u32_e32 v3, vcc, v3, v6, vcc
	v_cmp_le_i32_e32 vcc, s28, v1
	s_or_b64 s[16:17], vcc, s[16:17]
	s_waitcnt vmcnt(0)
	ds_write_b32 v5, v7
	v_add_u32_e32 v5, 0x1000, v5
	s_andn2_b64 exec, exec, s[16:17]
	s_cbranch_execnz .LBB5_7
.LBB5_8:
	s_or_b64 exec, exec, s[24:25]
	s_lshl_b64 s[4:5], s[10:11], 2
	s_lshl_b64 s[16:17], s[18:19], 2
	s_add_u32 s4, s4, s16
	s_addc_u32 s5, s5, s17
	s_add_u32 s4, s2, s4
	v_lshlrev_b32_e32 v2, 2, v0
	s_addc_u32 s5, s3, s5
	v_add3_u32 v5, v2, 0, 64
	v_mov_b32_e32 v3, s5
	v_add_co_u32_e32 v2, vcc, s4, v2
	v_mov_b32_e32 v1, 0
	v_addc_co_u32_e32 v3, vcc, 0, v3, vcc
	s_mov_b64 s[4:5], 0
	v_mov_b32_e32 v6, v0
.LBB5_9:                                ; =>This Inner Loop Header: Depth=1
	global_load_dword v7, v[2:3], off
	ds_read_b32 v8, v5
	v_add_co_u32_e32 v2, vcc, 0x1000, v2
	v_add_u32_e32 v6, 0x400, v6
	v_addc_co_u32_e32 v3, vcc, 0, v3, vcc
	v_cmp_le_i32_e32 vcc, s28, v6
	v_add_u32_e32 v5, 0x1000, v5
	s_or_b64 s[4:5], vcc, s[4:5]
	s_waitcnt vmcnt(0) lgkmcnt(0)
	v_mul_f32_e32 v7, v7, v8
	v_add_f32_e32 v1, v1, v7
	s_andn2_b64 exec, exec, s[4:5]
	s_cbranch_execnz .LBB5_9
; %bb.10:
	s_or_b64 exec, exec, s[4:5]
.LBB5_11:
	s_or_b64 exec, exec, s[6:7]
	v_mbcnt_lo_u32_b32 v2, -1, 0
	v_mbcnt_hi_u32_b32 v2, -1, v2
	v_and_b32_e32 v3, 63, v2
	v_cmp_ne_u32_e32 vcc, 63, v3
	v_addc_co_u32_e32 v5, vcc, 0, v2, vcc
	v_lshlrev_b32_e32 v5, 2, v5
	ds_bpermute_b32 v5, v5, v1
	v_cmp_gt_u32_e32 vcc, 62, v3
	v_cndmask_b32_e64 v6, 0, 1, vcc
	v_cmp_gt_u32_e32 vcc, 60, v3
	s_waitcnt lgkmcnt(0)
	v_add_f32_e32 v1, v1, v5
	v_lshlrev_b32_e32 v5, 1, v6
	v_add_lshl_u32 v5, v5, v2, 2
	ds_bpermute_b32 v5, v5, v1
	v_cndmask_b32_e64 v6, 0, 1, vcc
	v_cmp_gt_u32_e32 vcc, 56, v3
	s_waitcnt lgkmcnt(0)
	v_add_f32_e32 v1, v1, v5
	v_lshlrev_b32_e32 v5, 2, v6
	v_add_lshl_u32 v5, v5, v2, 2
	ds_bpermute_b32 v5, v5, v1
	v_cndmask_b32_e64 v6, 0, 1, vcc
	v_cmp_gt_u32_e32 vcc, 48, v3
	s_waitcnt lgkmcnt(0)
	v_add_f32_e32 v1, v1, v5
	v_lshlrev_b32_e32 v5, 3, v6
	v_add_lshl_u32 v5, v5, v2, 2
	ds_bpermute_b32 v5, v5, v1
	v_cndmask_b32_e64 v6, 0, 1, vcc
	v_cmp_gt_u32_e32 vcc, 32, v3
	v_cndmask_b32_e64 v3, 0, 1, vcc
	v_lshlrev_b32_e32 v3, 5, v3
	s_waitcnt lgkmcnt(0)
	v_add_f32_e32 v1, v1, v5
	v_lshlrev_b32_e32 v5, 4, v6
	v_add_lshl_u32 v5, v5, v2, 2
	ds_bpermute_b32 v5, v5, v1
	v_add_lshl_u32 v2, v3, v2, 2
	v_and_b32_e32 v3, 63, v0
	v_cmp_eq_u32_e32 vcc, 0, v3
	s_waitcnt lgkmcnt(0)
	v_add_f32_e32 v1, v1, v5
	ds_bpermute_b32 v2, v2, v1
	s_waitcnt lgkmcnt(0)
	v_add_f32_e32 v1, v1, v2
	s_and_saveexec_b64 s[4:5], vcc
	s_cbranch_execz .LBB5_13
; %bb.12:
	v_lshrrev_b32_e32 v2, 4, v0
	v_add_u32_e32 v2, 0, v2
	ds_write_b32 v2, v1
.LBB5_13:
	s_or_b64 exec, exec, s[4:5]
	v_cmp_eq_u32_e32 vcc, 0, v0
	s_waitcnt lgkmcnt(0)
	s_barrier
	s_and_saveexec_b64 s[4:5], vcc
	s_cbranch_execz .LBB5_15
; %bb.14:
	v_mov_b32_e32 v5, 0
	ds_read2_b32 v[2:3], v5 offset0:1 offset1:2
	ds_read2_b32 v[6:7], v5 offset0:3 offset1:4
	;; [unrolled: 1-line block ×4, first 2 shown]
	s_waitcnt lgkmcnt(3)
	v_add_f32_e32 v1, v1, v2
	v_add_f32_e32 v1, v1, v3
	s_waitcnt lgkmcnt(2)
	v_add_f32_e32 v1, v1, v6
	v_add_f32_e32 v1, v1, v7
	ds_read2_b32 v[2:3], v5 offset0:9 offset1:10
	s_waitcnt lgkmcnt(2)
	v_add_f32_e32 v1, v1, v8
	v_add_f32_e32 v1, v1, v9
	s_waitcnt lgkmcnt(1)
	v_add_f32_e32 v1, v1, v10
	v_add_f32_e32 v1, v1, v11
	ds_read2_b32 v[6:7], v5 offset0:11 offset1:12
	ds_read2_b32 v[8:9], v5 offset0:13 offset1:14
	ds_read_b32 v10, v5 offset:60
	s_waitcnt lgkmcnt(3)
	v_add_f32_e32 v1, v1, v2
	v_add_f32_e32 v1, v1, v3
	s_waitcnt lgkmcnt(2)
	v_add_f32_e32 v1, v1, v6
	v_add_f32_e32 v1, v1, v7
	;; [unrolled: 3-line block ×3, first 2 shown]
	s_waitcnt lgkmcnt(0)
	v_add_f32_e32 v1, v1, v10
	ds_write_b32 v5, v1
.LBB5_15:
	s_or_b64 exec, exec, s[4:5]
	s_waitcnt lgkmcnt(0)
	s_barrier
	s_and_saveexec_b64 s[4:5], s[0:1]
	s_cbranch_execz .LBB5_23
; %bb.16:
	s_mul_i32 s0, s8, s15
	s_mul_hi_u32 s1, s8, s14
	s_add_i32 s0, s1, s0
	s_mul_i32 s1, s9, s14
	s_add_i32 s1, s0, s1
	s_mul_i32 s0, s8, s14
	s_lshl_b64 s[0:1], s[0:1], 2
	s_add_u32 s0, s12, s0
	s_addc_u32 s1, s13, s1
	v_mov_b32_e32 v5, 0
	s_load_dword s0, s[0:1], 0x0
	ds_read_b32 v1, v5
	s_mov_b64 s[4:5], -1
	s_waitcnt lgkmcnt(0)
	v_mul_f32_e64 v2, v1, -s0
	s_movk_i32 s0, 0x3ff
	v_cmp_lt_u32_e32 vcc, s0, v4
	s_and_saveexec_b64 s[0:1], vcc
	s_cbranch_execz .LBB5_20
; %bb.17:
	s_lshl_b64 s[4:5], s[18:19], 2
	s_add_u32 s6, s2, s4
	v_lshrrev_b32_e32 v1, 10, v4
	s_addc_u32 s7, s3, s5
	s_lshl_b64 s[4:5], s[10:11], 2
	v_add_u32_e32 v8, 1, v1
	s_add_u32 s6, s6, s4
	s_addc_u32 s7, s7, s5
	v_and_b32_e32 v9, 0x7ffffe, v8
	v_or_b32_e32 v1, 0x400, v0
	v_lshlrev_b32_e32 v4, 2, v0
	v_mov_b32_e32 v3, v2
	v_add3_u32 v10, v4, 0, 64
	s_mov_b64 s[4:5], 0
	v_mov_b32_e32 v11, s7
	v_mov_b32_e32 v12, v9
	v_pk_mov_b32 v[6:7], v[0:1], v[0:1] op_sel:[0,1]
.LBB5_18:                               ; =>This Inner Loop Header: Depth=1
	v_mov_b32_e32 v4, v6
	v_lshlrev_b64 v[14:15], 2, v[4:5]
	v_mov_b32_e32 v4, v7
	v_add_co_u32_e32 v14, vcc, s6, v14
	v_addc_co_u32_e32 v15, vcc, v11, v15, vcc
	v_lshlrev_b64 v[16:17], 2, v[4:5]
	v_add_co_u32_e32 v16, vcc, s6, v16
	v_addc_co_u32_e32 v17, vcc, v11, v17, vcc
	global_load_dword v18, v[14:15], off
	global_load_dword v19, v[16:17], off
	ds_read2st64_b32 v[20:21], v10 offset1:16
	v_add_u32_e32 v12, -2, v12
	v_cmp_eq_u32_e32 vcc, 0, v12
	v_add_u32_e32 v6, 0x800, v6
	v_add_u32_e32 v10, 0x2000, v10
	;; [unrolled: 1-line block ×3, first 2 shown]
	s_or_b64 s[4:5], vcc, s[4:5]
	s_waitcnt vmcnt(0) lgkmcnt(0)
	v_pk_fma_f32 v[18:19], v[2:3], v[20:21], v[18:19]
	global_store_dword v[14:15], v18, off
	global_store_dword v[16:17], v19, off
	s_andn2_b64 exec, exec, s[4:5]
	s_cbranch_execnz .LBB5_18
; %bb.19:
	s_or_b64 exec, exec, s[4:5]
	v_cmp_ne_u32_e32 vcc, v8, v9
	v_lshl_or_b32 v0, v9, 10, v0
	s_orn2_b64 s[4:5], vcc, exec
.LBB5_20:
	s_or_b64 exec, exec, s[0:1]
	s_and_b64 exec, exec, s[4:5]
	s_cbranch_execz .LBB5_23
; %bb.21:
	s_lshl_b64 s[0:1], s[10:11], 2
	s_lshl_b64 s[4:5], s[18:19], 2
	s_add_u32 s0, s0, s4
	v_lshlrev_b32_e32 v1, 2, v0
	s_addc_u32 s1, s1, s5
	v_add3_u32 v3, v1, 0, 64
	v_mov_b32_e32 v1, 0
	s_add_u32 s0, s2, s0
	v_lshlrev_b64 v[4:5], 2, v[0:1]
	s_addc_u32 s1, s3, s1
	v_mov_b32_e32 v1, s1
	v_add_co_u32_e32 v4, vcc, s0, v4
	v_addc_co_u32_e32 v5, vcc, v1, v5, vcc
	s_mov_b64 s[0:1], 0
.LBB5_22:                               ; =>This Inner Loop Header: Depth=1
	global_load_dword v1, v[4:5], off
	ds_read_b32 v6, v3
	v_add_u32_e32 v0, 0x400, v0
	v_cmp_le_i32_e32 vcc, s28, v0
	s_or_b64 s[0:1], vcc, s[0:1]
	v_add_u32_e32 v3, 0x1000, v3
	s_waitcnt vmcnt(0) lgkmcnt(0)
	v_fmac_f32_e32 v1, v2, v6
	global_store_dword v[4:5], v1, off
	v_add_co_u32_e32 v4, vcc, 0x1000, v4
	v_addc_co_u32_e32 v5, vcc, 0, v5, vcc
	s_andn2_b64 exec, exec, s[0:1]
	s_cbranch_execnz .LBB5_22
.LBB5_23:
	s_endpgm
	.section	.rodata,"a",@progbits
	.p2align	6, 0x0
	.amdhsa_kernel _ZN9rocsolver6v33100L16larf_left_kernelILi1024EfiPKPfEEvT1_S5_T2_lS5_lPKT0_lS6_lS5_l
		.amdhsa_group_segment_fixed_size 0
		.amdhsa_private_segment_fixed_size 0
		.amdhsa_kernarg_size 88
		.amdhsa_user_sgpr_count 6
		.amdhsa_user_sgpr_private_segment_buffer 1
		.amdhsa_user_sgpr_dispatch_ptr 0
		.amdhsa_user_sgpr_queue_ptr 0
		.amdhsa_user_sgpr_kernarg_segment_ptr 1
		.amdhsa_user_sgpr_dispatch_id 0
		.amdhsa_user_sgpr_flat_scratch_init 0
		.amdhsa_user_sgpr_kernarg_preload_length 0
		.amdhsa_user_sgpr_kernarg_preload_offset 0
		.amdhsa_user_sgpr_private_segment_size 0
		.amdhsa_uses_dynamic_stack 0
		.amdhsa_system_sgpr_private_segment_wavefront_offset 0
		.amdhsa_system_sgpr_workgroup_id_x 1
		.amdhsa_system_sgpr_workgroup_id_y 1
		.amdhsa_system_sgpr_workgroup_id_z 1
		.amdhsa_system_sgpr_workgroup_info 0
		.amdhsa_system_vgpr_workitem_id 0
		.amdhsa_next_free_vgpr 22
		.amdhsa_next_free_sgpr 36
		.amdhsa_accum_offset 24
		.amdhsa_reserve_vcc 1
		.amdhsa_reserve_flat_scratch 0
		.amdhsa_float_round_mode_32 0
		.amdhsa_float_round_mode_16_64 0
		.amdhsa_float_denorm_mode_32 3
		.amdhsa_float_denorm_mode_16_64 3
		.amdhsa_dx10_clamp 1
		.amdhsa_ieee_mode 1
		.amdhsa_fp16_overflow 0
		.amdhsa_tg_split 0
		.amdhsa_exception_fp_ieee_invalid_op 0
		.amdhsa_exception_fp_denorm_src 0
		.amdhsa_exception_fp_ieee_div_zero 0
		.amdhsa_exception_fp_ieee_overflow 0
		.amdhsa_exception_fp_ieee_underflow 0
		.amdhsa_exception_fp_ieee_inexact 0
		.amdhsa_exception_int_div_zero 0
	.end_amdhsa_kernel
	.section	.text._ZN9rocsolver6v33100L16larf_left_kernelILi1024EfiPKPfEEvT1_S5_T2_lS5_lPKT0_lS6_lS5_l,"axG",@progbits,_ZN9rocsolver6v33100L16larf_left_kernelILi1024EfiPKPfEEvT1_S5_T2_lS5_lPKT0_lS6_lS5_l,comdat
.Lfunc_end5:
	.size	_ZN9rocsolver6v33100L16larf_left_kernelILi1024EfiPKPfEEvT1_S5_T2_lS5_lPKT0_lS6_lS5_l, .Lfunc_end5-_ZN9rocsolver6v33100L16larf_left_kernelILi1024EfiPKPfEEvT1_S5_T2_lS5_lPKT0_lS6_lS5_l
                                        ; -- End function
	.section	.AMDGPU.csdata,"",@progbits
; Kernel info:
; codeLenInByte = 1732
; NumSgprs: 40
; NumVgprs: 22
; NumAgprs: 0
; TotalNumVgprs: 22
; ScratchSize: 0
; MemoryBound: 0
; FloatMode: 240
; IeeeMode: 1
; LDSByteSize: 0 bytes/workgroup (compile time only)
; SGPRBlocks: 4
; VGPRBlocks: 2
; NumSGPRsForWavesPerEU: 40
; NumVGPRsForWavesPerEU: 22
; AccumOffset: 24
; Occupancy: 8
; WaveLimiterHint : 1
; COMPUTE_PGM_RSRC2:SCRATCH_EN: 0
; COMPUTE_PGM_RSRC2:USER_SGPR: 6
; COMPUTE_PGM_RSRC2:TRAP_HANDLER: 0
; COMPUTE_PGM_RSRC2:TGID_X_EN: 1
; COMPUTE_PGM_RSRC2:TGID_Y_EN: 1
; COMPUTE_PGM_RSRC2:TGID_Z_EN: 1
; COMPUTE_PGM_RSRC2:TIDIG_COMP_CNT: 0
; COMPUTE_PGM_RSRC3_GFX90A:ACCUM_OFFSET: 5
; COMPUTE_PGM_RSRC3_GFX90A:TG_SPLIT: 0
	.section	.text._ZN9rocsolver6v33100L17larf_right_kernelILi1024EfiPKPfEEvT1_S5_T2_lS5_lPKT0_lS6_lS5_l,"axG",@progbits,_ZN9rocsolver6v33100L17larf_right_kernelILi1024EfiPKPfEEvT1_S5_T2_lS5_lPKT0_lS6_lS5_l,comdat
	.globl	_ZN9rocsolver6v33100L17larf_right_kernelILi1024EfiPKPfEEvT1_S5_T2_lS5_lPKT0_lS6_lS5_l ; -- Begin function _ZN9rocsolver6v33100L17larf_right_kernelILi1024EfiPKPfEEvT1_S5_T2_lS5_lPKT0_lS6_lS5_l
	.p2align	8
	.type	_ZN9rocsolver6v33100L17larf_right_kernelILi1024EfiPKPfEEvT1_S5_T2_lS5_lPKT0_lS6_lS5_l,@function
_ZN9rocsolver6v33100L17larf_right_kernelILi1024EfiPKPfEEvT1_S5_T2_lS5_lPKT0_lS6_lS5_l: ; @_ZN9rocsolver6v33100L17larf_right_kernelILi1024EfiPKPfEEvT1_S5_T2_lS5_lPKT0_lS6_lS5_l
; %bb.0:
	s_load_dwordx8 s[12:19], s[4:5], 0x28
	s_load_dword s30, s[4:5], 0x4
	s_load_dword s6, s[4:5], 0x48
	s_ashr_i32 s9, s8, 31
	s_lshl_b64 s[24:25], s[8:9], 3
	s_waitcnt lgkmcnt(0)
	s_add_u32 s0, s16, s24
	s_addc_u32 s1, s17, s25
	s_load_dwordx2 s[16:17], s[0:1], 0x0
	s_mov_b32 s10, s7
	s_ashr_i32 s11, s7, 31
	v_cmp_gt_i32_e32 vcc, s30, v0
	v_mov_b32_e32 v1, 0
	s_and_saveexec_b64 s[20:21], vcc
	s_cbranch_execz .LBB6_11
; %bb.1:
	s_load_dword s22, s[4:5], 0x18
	s_load_dwordx4 s[0:3], s[4:5], 0x8
	s_sub_i32 s4, 1, s30
	v_xad_u32 v2, v0, -1, s30
	s_mov_b64 s[28:29], -1
	s_waitcnt lgkmcnt(0)
	s_ashr_i32 s23, s22, 31
	s_mul_i32 s7, s4, s22
	v_cmp_lt_i64_e64 s[4:5], s[22:23], 1
	s_and_b64 s[4:5], s[4:5], exec
	s_cselect_b32 s4, s7, 0
	s_ashr_i32 s5, s4, 31
	s_add_u32 s0, s0, s24
	s_addc_u32 s1, s1, s25
	s_load_dwordx2 s[24:25], s[0:1], 0x0
	s_movk_i32 s0, 0x3ff
	v_cmp_lt_u32_e64 s[0:1], s0, v2
	v_mov_b32_e32 v1, v0
	s_and_saveexec_b64 s[26:27], s[0:1]
	s_cbranch_execz .LBB6_5
; %bb.2:
	s_lshl_b64 s[0:1], s[2:3], 2
	s_waitcnt lgkmcnt(0)
	s_add_u32 s7, s24, s0
	s_addc_u32 s28, s25, s1
	s_lshl_b64 s[0:1], s[4:5], 2
	v_lshrrev_b32_e32 v1, 10, v2
	s_add_u32 s7, s7, s0
	v_add_u32_e32 v4, 1, v1
	s_addc_u32 s0, s28, s1
	v_and_b32_e32 v5, 0x7ffffe, v4
	v_or_b32_e32 v1, 0x400, v0
	v_lshlrev_b32_e32 v2, 2, v0
	s_mov_b32 s31, s22
	s_mov_b32 s33, s23
	v_add3_u32 v6, v2, 0, 64
	s_mov_b64 s[28:29], 0
	v_mov_b32_e32 v7, s0
	v_mov_b32_e32 v8, v5
	v_pk_mov_b32 v[2:3], v[0:1], v[0:1] op_sel:[0,1]
.LBB6_3:                                ; =>This Inner Loop Header: Depth=1
	v_mad_u64_u32 v[12:13], s[0:1], s22, v2, 0
	v_mov_b32_e32 v16, v13
	v_mad_u64_u32 v[10:11], s[0:1], s31, v3, 0
	v_mad_u64_u32 v[16:17], s[0:1], s23, v2, v[16:17]
	v_mov_b32_e32 v14, v11
	v_mov_b32_e32 v13, v16
	v_mad_u64_u32 v[14:15], s[0:1], s33, v3, v[14:15]
	v_lshlrev_b64 v[12:13], 2, v[12:13]
	v_mov_b32_e32 v11, v14
	v_add_co_u32_e64 v12, s[0:1], s7, v12
	v_lshlrev_b64 v[10:11], 2, v[10:11]
	v_addc_co_u32_e64 v13, s[0:1], v7, v13, s[0:1]
	v_add_co_u32_e64 v10, s[0:1], s7, v10
	v_addc_co_u32_e64 v11, s[0:1], v7, v11, s[0:1]
	global_load_dword v1, v[12:13], off
	global_load_dword v9, v[10:11], off
	v_add_u32_e32 v8, -2, v8
	v_cmp_eq_u32_e64 s[0:1], 0, v8
	v_add_u32_e32 v3, 0x800, v3
	v_add_u32_e32 v2, 0x800, v2
	s_or_b64 s[28:29], s[0:1], s[28:29]
	s_waitcnt vmcnt(0)
	ds_write2st64_b32 v6, v1, v9 offset1:16
	v_add_u32_e32 v6, 0x2000, v6
	s_andn2_b64 exec, exec, s[28:29]
	s_cbranch_execnz .LBB6_3
; %bb.4:
	s_or_b64 exec, exec, s[28:29]
	v_cmp_ne_u32_e64 s[0:1], v4, v5
	v_lshl_or_b32 v1, v5, 10, v0
	s_orn2_b64 s[28:29], s[0:1], exec
.LBB6_5:
	s_or_b64 exec, exec, s[26:27]
	s_and_saveexec_b64 s[26:27], s[28:29]
	s_cbranch_execz .LBB6_8
; %bb.6:
	v_lshlrev_b32_e32 v2, 2, v1
	v_add3_u32 v4, v2, 0, 64
	v_mad_u64_u32 v[2:3], s[0:1], s22, v1, 0
	v_mov_b32_e32 v6, v3
	v_mad_u64_u32 v[6:7], s[0:1], s23, v1, v[6:7]
	s_lshl_b64 s[0:1], s[2:3], 2
	s_lshl_b64 s[2:3], s[4:5], 2
	s_waitcnt lgkmcnt(0)
	s_add_u32 s2, s24, s2
	s_addc_u32 s3, s25, s3
	v_mov_b32_e32 v3, v6
	s_add_u32 s0, s2, s0
	v_lshlrev_b64 v[2:3], 2, v[2:3]
	s_addc_u32 s1, s3, s1
	v_mov_b32_e32 v5, s1
	v_add_co_u32_e64 v2, s[0:1], s0, v2
	s_lshl_b64 s[2:3], s[22:23], 12
	v_addc_co_u32_e64 v3, s[0:1], v5, v3, s[0:1]
	s_mov_b64 s[4:5], 0
	v_mov_b32_e32 v5, s3
.LBB6_7:                                ; =>This Inner Loop Header: Depth=1
	global_load_dword v6, v[2:3], off
	v_add_co_u32_e64 v2, s[0:1], s2, v2
	v_add_u32_e32 v1, 0x400, v1
	v_addc_co_u32_e64 v3, s[0:1], v3, v5, s[0:1]
	v_cmp_le_i32_e64 s[0:1], s30, v1
	s_or_b64 s[4:5], s[0:1], s[4:5]
	s_waitcnt vmcnt(0)
	ds_write_b32 v4, v6
	v_add_u32_e32 v4, 0x1000, v4
	s_andn2_b64 exec, exec, s[4:5]
	s_cbranch_execnz .LBB6_7
.LBB6_8:
	s_or_b64 exec, exec, s[26:27]
	v_mad_i64_i32 v[2:3], s[0:1], s6, v0, 0
	s_ashr_i32 s7, s6, 31
	s_lshl_b64 s[0:1], s[18:19], 2
	s_lshl_b64 s[2:3], s[10:11], 2
	s_add_u32 s2, s16, s2
	s_addc_u32 s3, s17, s3
	s_add_u32 s0, s2, s0
	v_lshlrev_b32_e32 v1, 2, v0
	v_lshlrev_b64 v[2:3], 2, v[2:3]
	s_addc_u32 s1, s3, s1
	v_add3_u32 v4, v1, 0, 64
	v_mov_b32_e32 v1, s1
	v_add_co_u32_e64 v2, s[0:1], s0, v2
	s_lshl_b64 s[4:5], s[6:7], 12
	v_addc_co_u32_e64 v3, s[0:1], v1, v3, s[0:1]
	s_mov_b64 s[2:3], 0
	v_mov_b32_e32 v1, 0
	v_mov_b32_e32 v5, s5
	;; [unrolled: 1-line block ×3, first 2 shown]
.LBB6_9:                                ; =>This Inner Loop Header: Depth=1
	global_load_dword v7, v[2:3], off
	ds_read_b32 v8, v4
	v_add_co_u32_e64 v2, s[0:1], s4, v2
	v_add_u32_e32 v6, 0x400, v6
	v_addc_co_u32_e64 v3, s[0:1], v3, v5, s[0:1]
	v_cmp_le_i32_e64 s[0:1], s30, v6
	v_add_u32_e32 v4, 0x1000, v4
	s_or_b64 s[2:3], s[0:1], s[2:3]
	s_waitcnt vmcnt(0) lgkmcnt(0)
	v_mul_f32_e32 v7, v7, v8
	v_add_f32_e32 v1, v1, v7
	s_andn2_b64 exec, exec, s[2:3]
	s_cbranch_execnz .LBB6_9
; %bb.10:
	s_or_b64 exec, exec, s[2:3]
.LBB6_11:
	s_or_b64 exec, exec, s[20:21]
	v_mbcnt_lo_u32_b32 v2, -1, 0
	v_mbcnt_hi_u32_b32 v2, -1, v2
	v_and_b32_e32 v3, 63, v2
	v_cmp_ne_u32_e64 s[0:1], 63, v3
	v_addc_co_u32_e64 v4, s[0:1], 0, v2, s[0:1]
	v_lshlrev_b32_e32 v4, 2, v4
	ds_bpermute_b32 v4, v4, v1
	v_cmp_gt_u32_e64 s[0:1], 62, v3
	v_cndmask_b32_e64 v5, 0, 1, s[0:1]
	v_cmp_gt_u32_e64 s[0:1], 60, v3
	s_waitcnt lgkmcnt(0)
	v_add_f32_e32 v1, v1, v4
	v_lshlrev_b32_e32 v4, 1, v5
	v_add_lshl_u32 v4, v4, v2, 2
	ds_bpermute_b32 v4, v4, v1
	v_cndmask_b32_e64 v5, 0, 1, s[0:1]
	v_cmp_gt_u32_e64 s[0:1], 56, v3
	s_waitcnt lgkmcnt(0)
	v_add_f32_e32 v1, v1, v4
	v_lshlrev_b32_e32 v4, 2, v5
	v_add_lshl_u32 v4, v4, v2, 2
	ds_bpermute_b32 v4, v4, v1
	;; [unrolled: 7-line block ×3, first 2 shown]
	v_cndmask_b32_e64 v5, 0, 1, s[0:1]
	v_cmp_gt_u32_e64 s[0:1], 32, v3
	v_cndmask_b32_e64 v3, 0, 1, s[0:1]
	v_lshlrev_b32_e32 v3, 5, v3
	s_waitcnt lgkmcnt(0)
	v_add_f32_e32 v1, v1, v4
	v_lshlrev_b32_e32 v4, 4, v5
	v_add_lshl_u32 v4, v4, v2, 2
	ds_bpermute_b32 v4, v4, v1
	v_add_lshl_u32 v2, v3, v2, 2
	v_and_b32_e32 v3, 63, v0
	v_cmp_eq_u32_e64 s[0:1], 0, v3
	s_waitcnt lgkmcnt(0)
	v_add_f32_e32 v1, v1, v4
	ds_bpermute_b32 v2, v2, v1
	s_waitcnt lgkmcnt(0)
	v_add_f32_e32 v1, v1, v2
	s_and_saveexec_b64 s[2:3], s[0:1]
	s_cbranch_execz .LBB6_13
; %bb.12:
	v_lshrrev_b32_e32 v2, 4, v0
	v_add_u32_e32 v2, 0, v2
	ds_write_b32 v2, v1
.LBB6_13:
	s_or_b64 exec, exec, s[2:3]
	v_cmp_eq_u32_e64 s[0:1], 0, v0
	s_waitcnt lgkmcnt(0)
	s_barrier
	s_and_saveexec_b64 s[2:3], s[0:1]
	s_cbranch_execz .LBB6_15
; %bb.14:
	v_mov_b32_e32 v10, 0
	ds_read2_b32 v[2:3], v10 offset0:1 offset1:2
	ds_read2_b32 v[4:5], v10 offset0:3 offset1:4
	;; [unrolled: 1-line block ×4, first 2 shown]
	s_waitcnt lgkmcnt(3)
	v_add_f32_e32 v1, v1, v2
	v_add_f32_e32 v1, v1, v3
	s_waitcnt lgkmcnt(2)
	v_add_f32_e32 v1, v1, v4
	v_add_f32_e32 v1, v1, v5
	ds_read2_b32 v[2:3], v10 offset0:9 offset1:10
	s_waitcnt lgkmcnt(2)
	v_add_f32_e32 v1, v1, v6
	v_add_f32_e32 v1, v1, v7
	s_waitcnt lgkmcnt(1)
	v_add_f32_e32 v1, v1, v8
	v_add_f32_e32 v1, v1, v9
	ds_read2_b32 v[4:5], v10 offset0:11 offset1:12
	ds_read2_b32 v[6:7], v10 offset0:13 offset1:14
	ds_read_b32 v8, v10 offset:60
	s_waitcnt lgkmcnt(3)
	v_add_f32_e32 v1, v1, v2
	v_add_f32_e32 v1, v1, v3
	s_waitcnt lgkmcnt(2)
	v_add_f32_e32 v1, v1, v4
	v_add_f32_e32 v1, v1, v5
	s_waitcnt lgkmcnt(1)
	v_add_f32_e32 v1, v1, v6
	v_add_f32_e32 v1, v1, v7
	s_waitcnt lgkmcnt(0)
	v_add_f32_e32 v1, v1, v8
	ds_write_b32 v10, v1
.LBB6_15:
	s_or_b64 exec, exec, s[2:3]
	s_waitcnt lgkmcnt(0)
	s_barrier
	s_and_saveexec_b64 s[0:1], vcc
	s_cbranch_execz .LBB6_18
; %bb.16:
	s_mul_i32 s0, s8, s15
	s_mul_hi_u32 s1, s8, s14
	s_add_i32 s0, s1, s0
	s_mul_i32 s1, s9, s14
	s_add_i32 s1, s0, s1
	s_mul_i32 s0, s8, s14
	s_lshl_b64 s[0:1], s[0:1], 2
	s_add_u32 s0, s12, s0
	s_addc_u32 s1, s13, s1
	v_mov_b32_e32 v1, 0
	s_load_dword s0, s[0:1], 0x0
	ds_read_b32 v1, v1
	v_lshlrev_b32_e32 v2, 2, v0
	v_add3_u32 v4, v2, 0, 64
	s_ashr_i32 s7, s6, 31
	s_lshl_b64 s[2:3], s[10:11], 2
	s_waitcnt lgkmcnt(0)
	v_mul_f32_e64 v1, v1, -s0
	v_mad_i64_i32 v[2:3], s[0:1], s6, v0, 0
	s_lshl_b64 s[0:1], s[18:19], 2
	s_add_u32 s2, s16, s2
	s_addc_u32 s3, s17, s3
	s_add_u32 s0, s2, s0
	v_lshlrev_b64 v[2:3], 2, v[2:3]
	s_addc_u32 s1, s3, s1
	v_mov_b32_e32 v5, s1
	v_add_co_u32_e32 v2, vcc, s0, v2
	s_lshl_b64 s[0:1], s[6:7], 12
	v_addc_co_u32_e32 v3, vcc, v5, v3, vcc
	s_mov_b64 s[2:3], 0
	v_mov_b32_e32 v5, s1
.LBB6_17:                               ; =>This Inner Loop Header: Depth=1
	global_load_dword v6, v[2:3], off
	ds_read_b32 v7, v4
	v_add_u32_e32 v0, 0x400, v0
	v_cmp_le_i32_e32 vcc, s30, v0
	s_or_b64 s[2:3], vcc, s[2:3]
	v_add_u32_e32 v4, 0x1000, v4
	s_waitcnt vmcnt(0) lgkmcnt(0)
	v_fmac_f32_e32 v6, v1, v7
	global_store_dword v[2:3], v6, off
	v_add_co_u32_e32 v2, vcc, s0, v2
	v_addc_co_u32_e32 v3, vcc, v3, v5, vcc
	s_andn2_b64 exec, exec, s[2:3]
	s_cbranch_execnz .LBB6_17
.LBB6_18:
	s_endpgm
	.section	.rodata,"a",@progbits
	.p2align	6, 0x0
	.amdhsa_kernel _ZN9rocsolver6v33100L17larf_right_kernelILi1024EfiPKPfEEvT1_S5_T2_lS5_lPKT0_lS6_lS5_l
		.amdhsa_group_segment_fixed_size 0
		.amdhsa_private_segment_fixed_size 0
		.amdhsa_kernarg_size 88
		.amdhsa_user_sgpr_count 6
		.amdhsa_user_sgpr_private_segment_buffer 1
		.amdhsa_user_sgpr_dispatch_ptr 0
		.amdhsa_user_sgpr_queue_ptr 0
		.amdhsa_user_sgpr_kernarg_segment_ptr 1
		.amdhsa_user_sgpr_dispatch_id 0
		.amdhsa_user_sgpr_flat_scratch_init 0
		.amdhsa_user_sgpr_kernarg_preload_length 0
		.amdhsa_user_sgpr_kernarg_preload_offset 0
		.amdhsa_user_sgpr_private_segment_size 0
		.amdhsa_uses_dynamic_stack 0
		.amdhsa_system_sgpr_private_segment_wavefront_offset 0
		.amdhsa_system_sgpr_workgroup_id_x 1
		.amdhsa_system_sgpr_workgroup_id_y 1
		.amdhsa_system_sgpr_workgroup_id_z 1
		.amdhsa_system_sgpr_workgroup_info 0
		.amdhsa_system_vgpr_workitem_id 0
		.amdhsa_next_free_vgpr 18
		.amdhsa_next_free_sgpr 34
		.amdhsa_accum_offset 20
		.amdhsa_reserve_vcc 1
		.amdhsa_reserve_flat_scratch 0
		.amdhsa_float_round_mode_32 0
		.amdhsa_float_round_mode_16_64 0
		.amdhsa_float_denorm_mode_32 3
		.amdhsa_float_denorm_mode_16_64 3
		.amdhsa_dx10_clamp 1
		.amdhsa_ieee_mode 1
		.amdhsa_fp16_overflow 0
		.amdhsa_tg_split 0
		.amdhsa_exception_fp_ieee_invalid_op 0
		.amdhsa_exception_fp_denorm_src 0
		.amdhsa_exception_fp_ieee_div_zero 0
		.amdhsa_exception_fp_ieee_overflow 0
		.amdhsa_exception_fp_ieee_underflow 0
		.amdhsa_exception_fp_ieee_inexact 0
		.amdhsa_exception_int_div_zero 0
	.end_amdhsa_kernel
	.section	.text._ZN9rocsolver6v33100L17larf_right_kernelILi1024EfiPKPfEEvT1_S5_T2_lS5_lPKT0_lS6_lS5_l,"axG",@progbits,_ZN9rocsolver6v33100L17larf_right_kernelILi1024EfiPKPfEEvT1_S5_T2_lS5_lPKT0_lS6_lS5_l,comdat
.Lfunc_end6:
	.size	_ZN9rocsolver6v33100L17larf_right_kernelILi1024EfiPKPfEEvT1_S5_T2_lS5_lPKT0_lS6_lS5_l, .Lfunc_end6-_ZN9rocsolver6v33100L17larf_right_kernelILi1024EfiPKPfEEvT1_S5_T2_lS5_lPKT0_lS6_lS5_l
                                        ; -- End function
	.section	.AMDGPU.csdata,"",@progbits
; Kernel info:
; codeLenInByte = 1596
; NumSgprs: 38
; NumVgprs: 18
; NumAgprs: 0
; TotalNumVgprs: 18
; ScratchSize: 0
; MemoryBound: 0
; FloatMode: 240
; IeeeMode: 1
; LDSByteSize: 0 bytes/workgroup (compile time only)
; SGPRBlocks: 4
; VGPRBlocks: 2
; NumSGPRsForWavesPerEU: 38
; NumVGPRsForWavesPerEU: 18
; AccumOffset: 20
; Occupancy: 8
; WaveLimiterHint : 1
; COMPUTE_PGM_RSRC2:SCRATCH_EN: 0
; COMPUTE_PGM_RSRC2:USER_SGPR: 6
; COMPUTE_PGM_RSRC2:TRAP_HANDLER: 0
; COMPUTE_PGM_RSRC2:TGID_X_EN: 1
; COMPUTE_PGM_RSRC2:TGID_Y_EN: 1
; COMPUTE_PGM_RSRC2:TGID_Z_EN: 1
; COMPUTE_PGM_RSRC2:TIDIG_COMP_CNT: 0
; COMPUTE_PGM_RSRC3_GFX90A:ACCUM_OFFSET: 4
; COMPUTE_PGM_RSRC3_GFX90A:TG_SPLIT: 0
	.section	.text._ZN9rocsolver6v33100L9get_arrayIfiEEvPPT_S3_lT0_,"axG",@progbits,_ZN9rocsolver6v33100L9get_arrayIfiEEvPPT_S3_lT0_,comdat
	.globl	_ZN9rocsolver6v33100L9get_arrayIfiEEvPPT_S3_lT0_ ; -- Begin function _ZN9rocsolver6v33100L9get_arrayIfiEEvPPT_S3_lT0_
	.p2align	8
	.type	_ZN9rocsolver6v33100L9get_arrayIfiEEvPPT_S3_lT0_,@function
_ZN9rocsolver6v33100L9get_arrayIfiEEvPPT_S3_lT0_: ; @_ZN9rocsolver6v33100L9get_arrayIfiEEvPPT_S3_lT0_
; %bb.0:
	s_load_dword s0, s[4:5], 0x2c
	s_load_dword s1, s[4:5], 0x18
	s_waitcnt lgkmcnt(0)
	s_and_b32 s0, s0, 0xffff
	s_mul_i32 s6, s6, s0
	v_add_u32_e32 v0, s6, v0
	v_cmp_gt_i32_e32 vcc, s1, v0
	s_and_saveexec_b64 s[0:1], vcc
	s_cbranch_execz .LBB7_2
; %bb.1:
	s_load_dwordx2 s[6:7], s[4:5], 0x10
	s_load_dwordx4 s[0:3], s[4:5], 0x0
	v_ashrrev_i32_e32 v1, 31, v0
	s_waitcnt lgkmcnt(0)
	v_mul_lo_u32 v4, v0, s7
	v_mul_lo_u32 v5, v1, s6
	v_mad_u64_u32 v[2:3], s[4:5], v0, s6, 0
	v_add3_u32 v3, v3, v4, v5
	v_lshlrev_b64 v[2:3], 2, v[2:3]
	v_mov_b32_e32 v4, s3
	v_add_co_u32_e32 v2, vcc, s2, v2
	v_addc_co_u32_e32 v3, vcc, v4, v3, vcc
	v_lshlrev_b64 v[0:1], 3, v[0:1]
	v_mov_b32_e32 v4, s1
	v_add_co_u32_e32 v0, vcc, s0, v0
	v_addc_co_u32_e32 v1, vcc, v4, v1, vcc
	global_store_dwordx2 v[0:1], v[2:3], off
.LBB7_2:
	s_endpgm
	.section	.rodata,"a",@progbits
	.p2align	6, 0x0
	.amdhsa_kernel _ZN9rocsolver6v33100L9get_arrayIfiEEvPPT_S3_lT0_
		.amdhsa_group_segment_fixed_size 0
		.amdhsa_private_segment_fixed_size 0
		.amdhsa_kernarg_size 288
		.amdhsa_user_sgpr_count 6
		.amdhsa_user_sgpr_private_segment_buffer 1
		.amdhsa_user_sgpr_dispatch_ptr 0
		.amdhsa_user_sgpr_queue_ptr 0
		.amdhsa_user_sgpr_kernarg_segment_ptr 1
		.amdhsa_user_sgpr_dispatch_id 0
		.amdhsa_user_sgpr_flat_scratch_init 0
		.amdhsa_user_sgpr_kernarg_preload_length 0
		.amdhsa_user_sgpr_kernarg_preload_offset 0
		.amdhsa_user_sgpr_private_segment_size 0
		.amdhsa_uses_dynamic_stack 0
		.amdhsa_system_sgpr_private_segment_wavefront_offset 0
		.amdhsa_system_sgpr_workgroup_id_x 1
		.amdhsa_system_sgpr_workgroup_id_y 0
		.amdhsa_system_sgpr_workgroup_id_z 0
		.amdhsa_system_sgpr_workgroup_info 0
		.amdhsa_system_vgpr_workitem_id 0
		.amdhsa_next_free_vgpr 6
		.amdhsa_next_free_sgpr 8
		.amdhsa_accum_offset 8
		.amdhsa_reserve_vcc 1
		.amdhsa_reserve_flat_scratch 0
		.amdhsa_float_round_mode_32 0
		.amdhsa_float_round_mode_16_64 0
		.amdhsa_float_denorm_mode_32 3
		.amdhsa_float_denorm_mode_16_64 3
		.amdhsa_dx10_clamp 1
		.amdhsa_ieee_mode 1
		.amdhsa_fp16_overflow 0
		.amdhsa_tg_split 0
		.amdhsa_exception_fp_ieee_invalid_op 0
		.amdhsa_exception_fp_denorm_src 0
		.amdhsa_exception_fp_ieee_div_zero 0
		.amdhsa_exception_fp_ieee_overflow 0
		.amdhsa_exception_fp_ieee_underflow 0
		.amdhsa_exception_fp_ieee_inexact 0
		.amdhsa_exception_int_div_zero 0
	.end_amdhsa_kernel
	.section	.text._ZN9rocsolver6v33100L9get_arrayIfiEEvPPT_S3_lT0_,"axG",@progbits,_ZN9rocsolver6v33100L9get_arrayIfiEEvPPT_S3_lT0_,comdat
.Lfunc_end7:
	.size	_ZN9rocsolver6v33100L9get_arrayIfiEEvPPT_S3_lT0_, .Lfunc_end7-_ZN9rocsolver6v33100L9get_arrayIfiEEvPPT_S3_lT0_
                                        ; -- End function
	.section	.AMDGPU.csdata,"",@progbits
; Kernel info:
; codeLenInByte = 156
; NumSgprs: 12
; NumVgprs: 6
; NumAgprs: 0
; TotalNumVgprs: 6
; ScratchSize: 0
; MemoryBound: 0
; FloatMode: 240
; IeeeMode: 1
; LDSByteSize: 0 bytes/workgroup (compile time only)
; SGPRBlocks: 1
; VGPRBlocks: 0
; NumSGPRsForWavesPerEU: 12
; NumVGPRsForWavesPerEU: 6
; AccumOffset: 8
; Occupancy: 8
; WaveLimiterHint : 0
; COMPUTE_PGM_RSRC2:SCRATCH_EN: 0
; COMPUTE_PGM_RSRC2:USER_SGPR: 6
; COMPUTE_PGM_RSRC2:TRAP_HANDLER: 0
; COMPUTE_PGM_RSRC2:TGID_X_EN: 1
; COMPUTE_PGM_RSRC2:TGID_Y_EN: 0
; COMPUTE_PGM_RSRC2:TGID_Z_EN: 0
; COMPUTE_PGM_RSRC2:TIDIG_COMP_CNT: 0
; COMPUTE_PGM_RSRC3_GFX90A:ACCUM_OFFSET: 1
; COMPUTE_PGM_RSRC3_GFX90A:TG_SPLIT: 0
	.section	.text._ZN9rocsolver6v33100L12restore_diagIfifPKPfEEvPT1_llT2_lT0_lS8_,"axG",@progbits,_ZN9rocsolver6v33100L12restore_diagIfifPKPfEEvPT1_llT2_lT0_lS8_,comdat
	.globl	_ZN9rocsolver6v33100L12restore_diagIfifPKPfEEvPT1_llT2_lT0_lS8_ ; -- Begin function _ZN9rocsolver6v33100L12restore_diagIfifPKPfEEvPT1_llT2_lT0_lS8_
	.p2align	8
	.type	_ZN9rocsolver6v33100L12restore_diagIfifPKPfEEvPT1_llT2_lT0_lS8_,@function
_ZN9rocsolver6v33100L12restore_diagIfifPKPfEEvPT1_llT2_lT0_lS8_: ; @_ZN9rocsolver6v33100L12restore_diagIfifPKPfEEvPT1_llT2_lT0_lS8_
; %bb.0:
	s_load_dword s0, s[4:5], 0x4c
	s_load_dword s1, s[4:5], 0x38
	v_bfe_u32 v0, v0, 10, 10
	s_waitcnt lgkmcnt(0)
	s_lshr_b32 s0, s0, 16
	s_mul_i32 s7, s7, s0
	v_add_u32_e32 v0, s7, v0
	v_cmp_gt_i32_e32 vcc, s1, v0
	s_and_saveexec_b64 s[0:1], vcc
	s_cbranch_execz .LBB8_2
; %bb.1:
	s_load_dwordx8 s[8:15], s[4:5], 0x0
	s_ashr_i32 s7, s6, 31
	s_lshl_b64 s[0:1], s[6:7], 3
	s_waitcnt lgkmcnt(0)
	s_add_u32 s0, s14, s0
	s_addc_u32 s1, s15, s1
	s_load_dwordx2 s[2:3], s[4:5], 0x20
	s_load_dwordx2 s[14:15], s[0:1], 0x0
	s_load_dword s16, s[4:5], 0x28
	s_mul_i32 s4, s6, s13
	s_mul_hi_u32 s5, s6, s12
	s_waitcnt lgkmcnt(0)
	s_lshl_b64 s[0:1], s[2:3], 2
	s_add_u32 s2, s14, s0
	s_addc_u32 s3, s15, s1
	s_add_i32 s0, s5, s4
	s_mul_i32 s1, s7, s12
	s_add_i32 s1, s0, s1
	s_mul_i32 s0, s6, s12
	s_lshl_b64 s[0:1], s[0:1], 2
	s_add_u32 s4, s8, s0
	s_addc_u32 s5, s9, s1
	s_lshl_b64 s[0:1], s[10:11], 2
	s_add_u32 s4, s4, s0
	s_addc_u32 s5, s5, s1
	v_mad_u64_u32 v[2:3], s[0:1], v0, s16, v[0:1]
	v_ashrrev_i32_e32 v1, 31, v0
	v_lshlrev_b64 v[0:1], 2, v[0:1]
	v_mov_b32_e32 v3, s5
	v_add_co_u32_e32 v0, vcc, s4, v0
	v_addc_co_u32_e32 v1, vcc, v3, v1, vcc
	global_load_dword v4, v[0:1], off
	v_ashrrev_i32_e32 v3, 31, v2
	v_lshlrev_b64 v[0:1], 2, v[2:3]
	v_mov_b32_e32 v2, s3
	v_add_co_u32_e32 v0, vcc, s2, v0
	v_addc_co_u32_e32 v1, vcc, v2, v1, vcc
	s_waitcnt vmcnt(0)
	global_store_dword v[0:1], v4, off
.LBB8_2:
	s_endpgm
	.section	.rodata,"a",@progbits
	.p2align	6, 0x0
	.amdhsa_kernel _ZN9rocsolver6v33100L12restore_diagIfifPKPfEEvPT1_llT2_lT0_lS8_
		.amdhsa_group_segment_fixed_size 0
		.amdhsa_private_segment_fixed_size 0
		.amdhsa_kernarg_size 320
		.amdhsa_user_sgpr_count 6
		.amdhsa_user_sgpr_private_segment_buffer 1
		.amdhsa_user_sgpr_dispatch_ptr 0
		.amdhsa_user_sgpr_queue_ptr 0
		.amdhsa_user_sgpr_kernarg_segment_ptr 1
		.amdhsa_user_sgpr_dispatch_id 0
		.amdhsa_user_sgpr_flat_scratch_init 0
		.amdhsa_user_sgpr_kernarg_preload_length 0
		.amdhsa_user_sgpr_kernarg_preload_offset 0
		.amdhsa_user_sgpr_private_segment_size 0
		.amdhsa_uses_dynamic_stack 0
		.amdhsa_system_sgpr_private_segment_wavefront_offset 0
		.amdhsa_system_sgpr_workgroup_id_x 1
		.amdhsa_system_sgpr_workgroup_id_y 1
		.amdhsa_system_sgpr_workgroup_id_z 0
		.amdhsa_system_sgpr_workgroup_info 0
		.amdhsa_system_vgpr_workitem_id 1
		.amdhsa_next_free_vgpr 5
		.amdhsa_next_free_sgpr 17
		.amdhsa_accum_offset 8
		.amdhsa_reserve_vcc 1
		.amdhsa_reserve_flat_scratch 0
		.amdhsa_float_round_mode_32 0
		.amdhsa_float_round_mode_16_64 0
		.amdhsa_float_denorm_mode_32 3
		.amdhsa_float_denorm_mode_16_64 3
		.amdhsa_dx10_clamp 1
		.amdhsa_ieee_mode 1
		.amdhsa_fp16_overflow 0
		.amdhsa_tg_split 0
		.amdhsa_exception_fp_ieee_invalid_op 0
		.amdhsa_exception_fp_denorm_src 0
		.amdhsa_exception_fp_ieee_div_zero 0
		.amdhsa_exception_fp_ieee_overflow 0
		.amdhsa_exception_fp_ieee_underflow 0
		.amdhsa_exception_fp_ieee_inexact 0
		.amdhsa_exception_int_div_zero 0
	.end_amdhsa_kernel
	.section	.text._ZN9rocsolver6v33100L12restore_diagIfifPKPfEEvPT1_llT2_lT0_lS8_,"axG",@progbits,_ZN9rocsolver6v33100L12restore_diagIfifPKPfEEvPT1_llT2_lT0_lS8_,comdat
.Lfunc_end8:
	.size	_ZN9rocsolver6v33100L12restore_diagIfifPKPfEEvPT1_llT2_lT0_lS8_, .Lfunc_end8-_ZN9rocsolver6v33100L12restore_diagIfifPKPfEEvPT1_llT2_lT0_lS8_
                                        ; -- End function
	.section	.AMDGPU.csdata,"",@progbits
; Kernel info:
; codeLenInByte = 248
; NumSgprs: 21
; NumVgprs: 5
; NumAgprs: 0
; TotalNumVgprs: 5
; ScratchSize: 0
; MemoryBound: 0
; FloatMode: 240
; IeeeMode: 1
; LDSByteSize: 0 bytes/workgroup (compile time only)
; SGPRBlocks: 2
; VGPRBlocks: 0
; NumSGPRsForWavesPerEU: 21
; NumVGPRsForWavesPerEU: 5
; AccumOffset: 8
; Occupancy: 8
; WaveLimiterHint : 1
; COMPUTE_PGM_RSRC2:SCRATCH_EN: 0
; COMPUTE_PGM_RSRC2:USER_SGPR: 6
; COMPUTE_PGM_RSRC2:TRAP_HANDLER: 0
; COMPUTE_PGM_RSRC2:TGID_X_EN: 1
; COMPUTE_PGM_RSRC2:TGID_Y_EN: 1
; COMPUTE_PGM_RSRC2:TGID_Z_EN: 0
; COMPUTE_PGM_RSRC2:TIDIG_COMP_CNT: 1
; COMPUTE_PGM_RSRC3_GFX90A:ACCUM_OFFSET: 1
; COMPUTE_PGM_RSRC3_GFX90A:TG_SPLIT: 0
	.section	.text._ZN9rocsolver6v33100L6iota_nIdEEvPT_jS2_,"axG",@progbits,_ZN9rocsolver6v33100L6iota_nIdEEvPT_jS2_,comdat
	.globl	_ZN9rocsolver6v33100L6iota_nIdEEvPT_jS2_ ; -- Begin function _ZN9rocsolver6v33100L6iota_nIdEEvPT_jS2_
	.p2align	8
	.type	_ZN9rocsolver6v33100L6iota_nIdEEvPT_jS2_,@function
_ZN9rocsolver6v33100L6iota_nIdEEvPT_jS2_: ; @_ZN9rocsolver6v33100L6iota_nIdEEvPT_jS2_
; %bb.0:
	s_load_dword s0, s[4:5], 0x8
	s_waitcnt lgkmcnt(0)
	v_cmp_gt_u32_e32 vcc, s0, v0
	s_and_saveexec_b64 s[0:1], vcc
	s_cbranch_execz .LBB9_2
; %bb.1:
	s_load_dwordx2 s[0:1], s[4:5], 0x10
	s_load_dwordx2 s[2:3], s[4:5], 0x0
	v_lshlrev_b32_e32 v2, 3, v0
	v_cvt_f64_u32_e32 v[0:1], v0
	s_waitcnt lgkmcnt(0)
	v_add_f64 v[0:1], v[0:1], s[0:1]
	global_store_dwordx2 v2, v[0:1], s[2:3]
.LBB9_2:
	s_endpgm
	.section	.rodata,"a",@progbits
	.p2align	6, 0x0
	.amdhsa_kernel _ZN9rocsolver6v33100L6iota_nIdEEvPT_jS2_
		.amdhsa_group_segment_fixed_size 0
		.amdhsa_private_segment_fixed_size 0
		.amdhsa_kernarg_size 24
		.amdhsa_user_sgpr_count 6
		.amdhsa_user_sgpr_private_segment_buffer 1
		.amdhsa_user_sgpr_dispatch_ptr 0
		.amdhsa_user_sgpr_queue_ptr 0
		.amdhsa_user_sgpr_kernarg_segment_ptr 1
		.amdhsa_user_sgpr_dispatch_id 0
		.amdhsa_user_sgpr_flat_scratch_init 0
		.amdhsa_user_sgpr_kernarg_preload_length 0
		.amdhsa_user_sgpr_kernarg_preload_offset 0
		.amdhsa_user_sgpr_private_segment_size 0
		.amdhsa_uses_dynamic_stack 0
		.amdhsa_system_sgpr_private_segment_wavefront_offset 0
		.amdhsa_system_sgpr_workgroup_id_x 1
		.amdhsa_system_sgpr_workgroup_id_y 0
		.amdhsa_system_sgpr_workgroup_id_z 0
		.amdhsa_system_sgpr_workgroup_info 0
		.amdhsa_system_vgpr_workitem_id 0
		.amdhsa_next_free_vgpr 3
		.amdhsa_next_free_sgpr 6
		.amdhsa_accum_offset 4
		.amdhsa_reserve_vcc 1
		.amdhsa_reserve_flat_scratch 0
		.amdhsa_float_round_mode_32 0
		.amdhsa_float_round_mode_16_64 0
		.amdhsa_float_denorm_mode_32 3
		.amdhsa_float_denorm_mode_16_64 3
		.amdhsa_dx10_clamp 1
		.amdhsa_ieee_mode 1
		.amdhsa_fp16_overflow 0
		.amdhsa_tg_split 0
		.amdhsa_exception_fp_ieee_invalid_op 0
		.amdhsa_exception_fp_denorm_src 0
		.amdhsa_exception_fp_ieee_div_zero 0
		.amdhsa_exception_fp_ieee_overflow 0
		.amdhsa_exception_fp_ieee_underflow 0
		.amdhsa_exception_fp_ieee_inexact 0
		.amdhsa_exception_int_div_zero 0
	.end_amdhsa_kernel
	.section	.text._ZN9rocsolver6v33100L6iota_nIdEEvPT_jS2_,"axG",@progbits,_ZN9rocsolver6v33100L6iota_nIdEEvPT_jS2_,comdat
.Lfunc_end9:
	.size	_ZN9rocsolver6v33100L6iota_nIdEEvPT_jS2_, .Lfunc_end9-_ZN9rocsolver6v33100L6iota_nIdEEvPT_jS2_
                                        ; -- End function
	.section	.AMDGPU.csdata,"",@progbits
; Kernel info:
; codeLenInByte = 72
; NumSgprs: 10
; NumVgprs: 3
; NumAgprs: 0
; TotalNumVgprs: 3
; ScratchSize: 0
; MemoryBound: 0
; FloatMode: 240
; IeeeMode: 1
; LDSByteSize: 0 bytes/workgroup (compile time only)
; SGPRBlocks: 1
; VGPRBlocks: 0
; NumSGPRsForWavesPerEU: 10
; NumVGPRsForWavesPerEU: 3
; AccumOffset: 4
; Occupancy: 8
; WaveLimiterHint : 0
; COMPUTE_PGM_RSRC2:SCRATCH_EN: 0
; COMPUTE_PGM_RSRC2:USER_SGPR: 6
; COMPUTE_PGM_RSRC2:TRAP_HANDLER: 0
; COMPUTE_PGM_RSRC2:TGID_X_EN: 1
; COMPUTE_PGM_RSRC2:TGID_Y_EN: 0
; COMPUTE_PGM_RSRC2:TGID_Z_EN: 0
; COMPUTE_PGM_RSRC2:TIDIG_COMP_CNT: 0
; COMPUTE_PGM_RSRC3_GFX90A:ACCUM_OFFSET: 0
; COMPUTE_PGM_RSRC3_GFX90A:TG_SPLIT: 0
	.section	.text._ZN9rocsolver6v33100L16reset_batch_infoIdiiPdEEvT2_lT0_T1_,"axG",@progbits,_ZN9rocsolver6v33100L16reset_batch_infoIdiiPdEEvT2_lT0_T1_,comdat
	.globl	_ZN9rocsolver6v33100L16reset_batch_infoIdiiPdEEvT2_lT0_T1_ ; -- Begin function _ZN9rocsolver6v33100L16reset_batch_infoIdiiPdEEvT2_lT0_T1_
	.p2align	8
	.type	_ZN9rocsolver6v33100L16reset_batch_infoIdiiPdEEvT2_lT0_T1_,@function
_ZN9rocsolver6v33100L16reset_batch_infoIdiiPdEEvT2_lT0_T1_: ; @_ZN9rocsolver6v33100L16reset_batch_infoIdiiPdEEvT2_lT0_T1_
; %bb.0:
	s_load_dword s2, s[4:5], 0x24
	s_load_dwordx2 s[0:1], s[4:5], 0x10
	s_waitcnt lgkmcnt(0)
	s_and_b32 s2, s2, 0xffff
	s_mul_i32 s6, s6, s2
	v_add_u32_e32 v0, s6, v0
	v_cmp_gt_i32_e32 vcc, s0, v0
	s_and_saveexec_b64 s[2:3], vcc
	s_cbranch_execz .LBB10_2
; %bb.1:
	s_load_dwordx4 s[8:11], s[4:5], 0x0
	s_ashr_i32 s0, s7, 31
	v_ashrrev_i32_e32 v1, 31, v0
	v_lshlrev_b64 v[0:1], 3, v[0:1]
	s_waitcnt lgkmcnt(0)
	s_mul_i32 s3, s7, s11
	s_mul_hi_u32 s4, s7, s10
	s_mul_i32 s0, s0, s10
	s_add_i32 s3, s4, s3
	s_mul_i32 s2, s7, s10
	s_add_i32 s3, s3, s0
	s_lshl_b64 s[2:3], s[2:3], 3
	s_add_u32 s0, s8, s2
	s_addc_u32 s2, s9, s3
	v_mov_b32_e32 v2, s2
	v_add_co_u32_e32 v0, vcc, s0, v0
	v_addc_co_u32_e32 v1, vcc, v2, v1, vcc
	v_cvt_f64_i32_e32 v[2:3], s1
	global_store_dwordx2 v[0:1], v[2:3], off
.LBB10_2:
	s_endpgm
	.section	.rodata,"a",@progbits
	.p2align	6, 0x0
	.amdhsa_kernel _ZN9rocsolver6v33100L16reset_batch_infoIdiiPdEEvT2_lT0_T1_
		.amdhsa_group_segment_fixed_size 0
		.amdhsa_private_segment_fixed_size 0
		.amdhsa_kernarg_size 280
		.amdhsa_user_sgpr_count 6
		.amdhsa_user_sgpr_private_segment_buffer 1
		.amdhsa_user_sgpr_dispatch_ptr 0
		.amdhsa_user_sgpr_queue_ptr 0
		.amdhsa_user_sgpr_kernarg_segment_ptr 1
		.amdhsa_user_sgpr_dispatch_id 0
		.amdhsa_user_sgpr_flat_scratch_init 0
		.amdhsa_user_sgpr_kernarg_preload_length 0
		.amdhsa_user_sgpr_kernarg_preload_offset 0
		.amdhsa_user_sgpr_private_segment_size 0
		.amdhsa_uses_dynamic_stack 0
		.amdhsa_system_sgpr_private_segment_wavefront_offset 0
		.amdhsa_system_sgpr_workgroup_id_x 1
		.amdhsa_system_sgpr_workgroup_id_y 1
		.amdhsa_system_sgpr_workgroup_id_z 0
		.amdhsa_system_sgpr_workgroup_info 0
		.amdhsa_system_vgpr_workitem_id 0
		.amdhsa_next_free_vgpr 4
		.amdhsa_next_free_sgpr 12
		.amdhsa_accum_offset 4
		.amdhsa_reserve_vcc 1
		.amdhsa_reserve_flat_scratch 0
		.amdhsa_float_round_mode_32 0
		.amdhsa_float_round_mode_16_64 0
		.amdhsa_float_denorm_mode_32 3
		.amdhsa_float_denorm_mode_16_64 3
		.amdhsa_dx10_clamp 1
		.amdhsa_ieee_mode 1
		.amdhsa_fp16_overflow 0
		.amdhsa_tg_split 0
		.amdhsa_exception_fp_ieee_invalid_op 0
		.amdhsa_exception_fp_denorm_src 0
		.amdhsa_exception_fp_ieee_div_zero 0
		.amdhsa_exception_fp_ieee_overflow 0
		.amdhsa_exception_fp_ieee_underflow 0
		.amdhsa_exception_fp_ieee_inexact 0
		.amdhsa_exception_int_div_zero 0
	.end_amdhsa_kernel
	.section	.text._ZN9rocsolver6v33100L16reset_batch_infoIdiiPdEEvT2_lT0_T1_,"axG",@progbits,_ZN9rocsolver6v33100L16reset_batch_infoIdiiPdEEvT2_lT0_T1_,comdat
.Lfunc_end10:
	.size	_ZN9rocsolver6v33100L16reset_batch_infoIdiiPdEEvT2_lT0_T1_, .Lfunc_end10-_ZN9rocsolver6v33100L16reset_batch_infoIdiiPdEEvT2_lT0_T1_
                                        ; -- End function
	.section	.AMDGPU.csdata,"",@progbits
; Kernel info:
; codeLenInByte = 140
; NumSgprs: 16
; NumVgprs: 4
; NumAgprs: 0
; TotalNumVgprs: 4
; ScratchSize: 0
; MemoryBound: 0
; FloatMode: 240
; IeeeMode: 1
; LDSByteSize: 0 bytes/workgroup (compile time only)
; SGPRBlocks: 1
; VGPRBlocks: 0
; NumSGPRsForWavesPerEU: 16
; NumVGPRsForWavesPerEU: 4
; AccumOffset: 4
; Occupancy: 8
; WaveLimiterHint : 0
; COMPUTE_PGM_RSRC2:SCRATCH_EN: 0
; COMPUTE_PGM_RSRC2:USER_SGPR: 6
; COMPUTE_PGM_RSRC2:TRAP_HANDLER: 0
; COMPUTE_PGM_RSRC2:TGID_X_EN: 1
; COMPUTE_PGM_RSRC2:TGID_Y_EN: 1
; COMPUTE_PGM_RSRC2:TGID_Z_EN: 0
; COMPUTE_PGM_RSRC2:TIDIG_COMP_CNT: 0
; COMPUTE_PGM_RSRC3_GFX90A:ACCUM_OFFSET: 0
; COMPUTE_PGM_RSRC3_GFX90A:TG_SPLIT: 0
	.section	.text._ZN9rocsolver6v33100L11set_taubetaIdidPKPdEEvPT_lS6_T2_llPT1_ll,"axG",@progbits,_ZN9rocsolver6v33100L11set_taubetaIdidPKPdEEvPT_lS6_T2_llPT1_ll,comdat
	.globl	_ZN9rocsolver6v33100L11set_taubetaIdidPKPdEEvPT_lS6_T2_llPT1_ll ; -- Begin function _ZN9rocsolver6v33100L11set_taubetaIdidPKPdEEvPT_lS6_T2_llPT1_ll
	.p2align	8
	.type	_ZN9rocsolver6v33100L11set_taubetaIdidPKPdEEvPT_lS6_T2_llPT1_ll,@function
_ZN9rocsolver6v33100L11set_taubetaIdidPKPdEEvPT_lS6_T2_llPT1_ll: ; @_ZN9rocsolver6v33100L11set_taubetaIdidPKPdEEvPT_lS6_T2_llPT1_ll
; %bb.0:
	s_load_dwordx8 s[8:15], s[4:5], 0x0
	s_load_dwordx2 s[20:21], s[4:5], 0x20
	s_load_dwordx4 s[0:3], s[4:5], 0x30
	s_ashr_i32 s7, s6, 31
	s_lshl_b64 s[18:19], s[6:7], 3
	s_waitcnt lgkmcnt(0)
	s_add_u32 s14, s14, s18
	s_addc_u32 s15, s15, s19
	s_load_dwordx2 s[22:23], s[14:15], 0x0
	s_mov_b64 s[16:17], 0
	s_cmp_eq_u64 s[0:1], 0
	s_mov_b64 s[14:15], 0
	s_cbranch_scc1 .LBB11_2
; %bb.1:
	s_load_dwordx2 s[4:5], s[4:5], 0x40
	s_waitcnt lgkmcnt(0)
	s_mul_i32 s5, s6, s5
	s_mul_hi_u32 s14, s6, s4
	s_mul_i32 s15, s7, s4
	s_add_i32 s5, s14, s5
	s_mul_i32 s4, s6, s4
	s_add_i32 s5, s5, s15
	s_lshl_b64 s[4:5], s[4:5], 3
	s_add_u32 s4, s0, s4
	s_addc_u32 s5, s1, s5
	s_lshl_b64 s[0:1], s[2:3], 3
	s_add_u32 s14, s4, s0
	s_addc_u32 s15, s5, s1
.LBB11_2:
	s_lshl_b64 s[0:1], s[20:21], 3
	s_waitcnt lgkmcnt(0)
	s_add_u32 s0, s22, s0
	s_mul_i32 s2, s6, s11
	s_mul_hi_u32 s3, s6, s10
	s_addc_u32 s1, s23, s1
	s_add_i32 s2, s3, s2
	s_mul_i32 s3, s7, s10
	s_add_i32 s3, s2, s3
	s_mul_i32 s2, s6, s10
	s_lshl_b64 s[2:3], s[2:3], 3
	s_add_u32 s2, s8, s2
	s_addc_u32 s3, s9, s3
	s_add_u32 s8, s12, s18
	s_addc_u32 s9, s13, s19
	s_load_dwordx2 s[10:11], s[8:9], 0x0
	s_cmp_eq_u64 s[14:15], 0
	s_cselect_b64 s[6:7], -1, 0
	s_cmp_lg_u64 s[14:15], 0
	s_cselect_b64 s[4:5], -1, 0
	s_waitcnt lgkmcnt(0)
	v_cmp_ngt_f64_e64 s[12:13], s[10:11], 0
	s_and_b64 vcc, exec, s[12:13]
	s_cbranch_vccz .LBB11_5
; %bb.3:
	v_mov_b32_e32 v0, 0
	v_mov_b32_e32 v1, 0x3ff00000
	global_store_dwordx2 v0, v[0:1], s[8:9]
	v_mov_b32_e32 v1, v0
	s_mov_b64 s[18:19], 0
	s_and_b64 vcc, exec, s[4:5]
	global_store_dwordx2 v0, v[0:1], s[2:3]
	s_cbranch_vccz .LBB11_6
; %bb.4:
	global_load_dwordx2 v[0:1], v0, s[0:1]
	s_mov_b64 s[12:13], -1
	s_and_b64 vcc, exec, s[18:19]
	s_cbranch_vccnz .LBB11_7
	s_branch .LBB11_8
.LBB11_5:
	s_mov_b64 s[18:19], -1
.LBB11_6:
	s_mov_b64 s[12:13], 0
                                        ; implicit-def: $vgpr0_vgpr1
	s_and_b64 vcc, exec, s[18:19]
	s_cbranch_vccz .LBB11_8
.LBB11_7:
	s_load_dwordx2 s[12:13], s[0:1], 0x0
	s_waitcnt vmcnt(0)
	v_pk_mov_b32 v[0:1], s[10:11], s[10:11] op_sel:[0,1]
	s_mov_b32 s10, 0
	s_brev_b32 s11, 8
	v_mov_b32_e32 v12, 0
	s_waitcnt lgkmcnt(0)
	v_fmac_f64_e64 v[0:1], s[12:13], s[12:13]
	v_cmp_gt_f64_e32 vcc, s[10:11], v[0:1]
	v_cndmask_b32_e64 v2, 0, 1, vcc
	v_lshlrev_b32_e32 v2, 8, v2
	v_ldexp_f64 v[0:1], v[0:1], v2
	v_rsq_f64_e32 v[2:3], v[0:1]
	s_and_b64 s[10:11], vcc, exec
	s_cselect_b32 s10, 0xffffff80, 0
	s_mov_b64 s[16:17], s[6:7]
	v_mul_f64 v[4:5], v[0:1], v[2:3]
	v_mul_f64 v[2:3], v[2:3], 0.5
	v_fma_f64 v[6:7], -v[2:3], v[4:5], 0.5
	v_fmac_f64_e32 v[4:5], v[4:5], v[6:7]
	v_fmac_f64_e32 v[2:3], v[2:3], v[6:7]
	v_fma_f64 v[6:7], -v[4:5], v[4:5], v[0:1]
	v_fmac_f64_e32 v[4:5], v[6:7], v[2:3]
	v_fma_f64 v[6:7], -v[4:5], v[4:5], v[0:1]
	v_fmac_f64_e32 v[4:5], v[6:7], v[2:3]
	v_ldexp_f64 v[2:3], v[4:5], s10
	v_mov_b32_e32 v4, 0x260
	v_cmp_class_f64_e32 vcc, v[0:1], v4
	v_cndmask_b32_e32 v1, v3, v1, vcc
	v_cndmask_b32_e32 v0, v2, v0, vcc
	v_xor_b32_e32 v2, 0x80000000, v1
	v_cmp_ge_f64_e64 vcc, s[12:13], 0
	v_cndmask_b32_e32 v1, v1, v2, vcc
	v_add_f64 v[2:3], s[12:13], -v[0:1]
	v_div_scale_f64 v[4:5], s[10:11], v[2:3], v[2:3], 1.0
	v_rcp_f64_e32 v[6:7], v[4:5]
	s_mov_b64 s[12:13], s[4:5]
	v_fma_f64 v[8:9], -v[4:5], v[6:7], 1.0
	v_fmac_f64_e32 v[6:7], v[6:7], v[8:9]
	v_fma_f64 v[8:9], -v[4:5], v[6:7], 1.0
	v_fmac_f64_e32 v[6:7], v[6:7], v[8:9]
	v_div_scale_f64 v[8:9], vcc, 1.0, v[2:3], 1.0
	v_mul_f64 v[10:11], v[8:9], v[6:7]
	v_fma_f64 v[4:5], -v[4:5], v[10:11], v[8:9]
	s_nop 1
	v_div_fmas_f64 v[4:5], v[4:5], v[6:7], v[10:11]
	v_div_fixup_f64 v[2:3], v[4:5], v[2:3], 1.0
	global_store_dwordx2 v12, v[2:3], s[8:9]
	global_load_dwordx2 v[2:3], v12, s[0:1]
	s_waitcnt vmcnt(0)
	v_add_f64 v[2:3], v[0:1], -v[2:3]
	v_div_scale_f64 v[4:5], s[8:9], v[0:1], v[0:1], v[2:3]
	v_rcp_f64_e32 v[6:7], v[4:5]
	v_div_scale_f64 v[8:9], vcc, v[2:3], v[0:1], v[2:3]
	v_fma_f64 v[10:11], -v[4:5], v[6:7], 1.0
	v_fmac_f64_e32 v[6:7], v[6:7], v[10:11]
	v_fma_f64 v[10:11], -v[4:5], v[6:7], 1.0
	v_fmac_f64_e32 v[6:7], v[6:7], v[10:11]
	v_mul_f64 v[10:11], v[8:9], v[6:7]
	v_fma_f64 v[4:5], -v[4:5], v[10:11], v[8:9]
	v_div_fmas_f64 v[4:5], v[4:5], v[6:7], v[10:11]
	v_div_fixup_f64 v[2:3], v[4:5], v[0:1], v[2:3]
	global_store_dwordx2 v12, v[2:3], s[2:3]
.LBB11_8:
	s_andn2_b64 vcc, exec, s[12:13]
	s_cbranch_vccz .LBB11_11
; %bb.9:
	s_andn2_b64 vcc, exec, s[16:17]
	s_cbranch_vccz .LBB11_12
; %bb.10:
	s_endpgm
.LBB11_11:
	v_pk_mov_b32 v[2:3], s[14:15], s[14:15] op_sel:[0,1]
	s_waitcnt vmcnt(0)
	flat_store_dwordx2 v[2:3], v[0:1]
	v_mov_b32_e32 v0, 0
	v_mov_b32_e32 v1, 0x3ff00000
.LBB11_12:
	v_mov_b32_e32 v2, 0
	s_waitcnt vmcnt(0) lgkmcnt(0)
	global_store_dwordx2 v2, v[0:1], s[0:1]
	s_endpgm
	.section	.rodata,"a",@progbits
	.p2align	6, 0x0
	.amdhsa_kernel _ZN9rocsolver6v33100L11set_taubetaIdidPKPdEEvPT_lS6_T2_llPT1_ll
		.amdhsa_group_segment_fixed_size 0
		.amdhsa_private_segment_fixed_size 0
		.amdhsa_kernarg_size 72
		.amdhsa_user_sgpr_count 6
		.amdhsa_user_sgpr_private_segment_buffer 1
		.amdhsa_user_sgpr_dispatch_ptr 0
		.amdhsa_user_sgpr_queue_ptr 0
		.amdhsa_user_sgpr_kernarg_segment_ptr 1
		.amdhsa_user_sgpr_dispatch_id 0
		.amdhsa_user_sgpr_flat_scratch_init 0
		.amdhsa_user_sgpr_kernarg_preload_length 0
		.amdhsa_user_sgpr_kernarg_preload_offset 0
		.amdhsa_user_sgpr_private_segment_size 0
		.amdhsa_uses_dynamic_stack 0
		.amdhsa_system_sgpr_private_segment_wavefront_offset 0
		.amdhsa_system_sgpr_workgroup_id_x 1
		.amdhsa_system_sgpr_workgroup_id_y 0
		.amdhsa_system_sgpr_workgroup_id_z 0
		.amdhsa_system_sgpr_workgroup_info 0
		.amdhsa_system_vgpr_workitem_id 0
		.amdhsa_next_free_vgpr 13
		.amdhsa_next_free_sgpr 24
		.amdhsa_accum_offset 16
		.amdhsa_reserve_vcc 1
		.amdhsa_reserve_flat_scratch 0
		.amdhsa_float_round_mode_32 0
		.amdhsa_float_round_mode_16_64 0
		.amdhsa_float_denorm_mode_32 3
		.amdhsa_float_denorm_mode_16_64 3
		.amdhsa_dx10_clamp 1
		.amdhsa_ieee_mode 1
		.amdhsa_fp16_overflow 0
		.amdhsa_tg_split 0
		.amdhsa_exception_fp_ieee_invalid_op 0
		.amdhsa_exception_fp_denorm_src 0
		.amdhsa_exception_fp_ieee_div_zero 0
		.amdhsa_exception_fp_ieee_overflow 0
		.amdhsa_exception_fp_ieee_underflow 0
		.amdhsa_exception_fp_ieee_inexact 0
		.amdhsa_exception_int_div_zero 0
	.end_amdhsa_kernel
	.section	.text._ZN9rocsolver6v33100L11set_taubetaIdidPKPdEEvPT_lS6_T2_llPT1_ll,"axG",@progbits,_ZN9rocsolver6v33100L11set_taubetaIdidPKPdEEvPT_lS6_T2_llPT1_ll,comdat
.Lfunc_end11:
	.size	_ZN9rocsolver6v33100L11set_taubetaIdidPKPdEEvPT_lS6_T2_llPT1_ll, .Lfunc_end11-_ZN9rocsolver6v33100L11set_taubetaIdidPKPdEEvPT_lS6_T2_llPT1_ll
                                        ; -- End function
	.section	.AMDGPU.csdata,"",@progbits
; Kernel info:
; codeLenInByte = 784
; NumSgprs: 28
; NumVgprs: 13
; NumAgprs: 0
; TotalNumVgprs: 13
; ScratchSize: 0
; MemoryBound: 0
; FloatMode: 240
; IeeeMode: 1
; LDSByteSize: 0 bytes/workgroup (compile time only)
; SGPRBlocks: 3
; VGPRBlocks: 1
; NumSGPRsForWavesPerEU: 28
; NumVGPRsForWavesPerEU: 13
; AccumOffset: 16
; Occupancy: 8
; WaveLimiterHint : 1
; COMPUTE_PGM_RSRC2:SCRATCH_EN: 0
; COMPUTE_PGM_RSRC2:USER_SGPR: 6
; COMPUTE_PGM_RSRC2:TRAP_HANDLER: 0
; COMPUTE_PGM_RSRC2:TGID_X_EN: 1
; COMPUTE_PGM_RSRC2:TGID_Y_EN: 0
; COMPUTE_PGM_RSRC2:TGID_Z_EN: 0
; COMPUTE_PGM_RSRC2:TIDIG_COMP_CNT: 0
; COMPUTE_PGM_RSRC3_GFX90A:ACCUM_OFFSET: 3
; COMPUTE_PGM_RSRC3_GFX90A:TG_SPLIT: 0
	.section	.text._ZN9rocsolver6v33100L8set_diagIdidPKPdTnNSt9enable_ifIXoont18rocblas_is_complexIT_E18rocblas_is_complexIT1_EEiE4typeELi0EEEvPS7_llT2_lT0_lSC_b,"axG",@progbits,_ZN9rocsolver6v33100L8set_diagIdidPKPdTnNSt9enable_ifIXoont18rocblas_is_complexIT_E18rocblas_is_complexIT1_EEiE4typeELi0EEEvPS7_llT2_lT0_lSC_b,comdat
	.globl	_ZN9rocsolver6v33100L8set_diagIdidPKPdTnNSt9enable_ifIXoont18rocblas_is_complexIT_E18rocblas_is_complexIT1_EEiE4typeELi0EEEvPS7_llT2_lT0_lSC_b ; -- Begin function _ZN9rocsolver6v33100L8set_diagIdidPKPdTnNSt9enable_ifIXoont18rocblas_is_complexIT_E18rocblas_is_complexIT1_EEiE4typeELi0EEEvPS7_llT2_lT0_lSC_b
	.p2align	8
	.type	_ZN9rocsolver6v33100L8set_diagIdidPKPdTnNSt9enable_ifIXoont18rocblas_is_complexIT_E18rocblas_is_complexIT1_EEiE4typeELi0EEEvPS7_llT2_lT0_lSC_b,@function
_ZN9rocsolver6v33100L8set_diagIdidPKPdTnNSt9enable_ifIXoont18rocblas_is_complexIT_E18rocblas_is_complexIT1_EEiE4typeELi0EEEvPS7_llT2_lT0_lSC_b: ; @_ZN9rocsolver6v33100L8set_diagIdidPKPdTnNSt9enable_ifIXoont18rocblas_is_complexIT_E18rocblas_is_complexIT1_EEiE4typeELi0EEEvPS7_llT2_lT0_lSC_b
; %bb.0:
	s_load_dword s2, s[4:5], 0x4c
	s_load_dwordx2 s[0:1], s[4:5], 0x38
	v_bfe_u32 v0, v0, 10, 10
	s_waitcnt lgkmcnt(0)
	s_lshr_b32 s2, s2, 16
	s_mul_i32 s7, s7, s2
	v_add_u32_e32 v0, s7, v0
	v_cmp_gt_i32_e32 vcc, s0, v0
	s_and_saveexec_b64 s[2:3], vcc
	s_cbranch_execz .LBB12_2
; %bb.1:
	s_load_dwordx8 s[8:15], s[4:5], 0x0
	s_bitcmp1_b32 s1, 0
	s_cselect_b64 vcc, -1, 0
	s_ashr_i32 s7, s6, 31
	s_lshl_b64 s[0:1], s[6:7], 3
	s_waitcnt lgkmcnt(0)
	s_add_u32 s0, s14, s0
	s_addc_u32 s1, s15, s1
	s_load_dwordx2 s[2:3], s[4:5], 0x20
	s_load_dwordx2 s[14:15], s[0:1], 0x0
	s_load_dword s16, s[4:5], 0x28
	v_mov_b32_e32 v6, 0x3ff00000
	s_waitcnt lgkmcnt(0)
	s_lshl_b64 s[0:1], s[2:3], 3
	s_add_u32 s2, s14, s0
	s_addc_u32 s3, s15, s1
	v_mad_u64_u32 v[2:3], s[0:1], v0, s16, v[0:1]
	v_ashrrev_i32_e32 v3, 31, v2
	v_lshlrev_b64 v[2:3], 3, v[2:3]
	v_mov_b32_e32 v1, s3
	v_add_co_u32_e64 v2, s[0:1], s2, v2
	v_addc_co_u32_e64 v3, s[0:1], v1, v3, s[0:1]
	global_load_dwordx2 v[4:5], v[2:3], off
	s_mul_i32 s1, s6, s13
	s_mul_hi_u32 s2, s6, s12
	s_mul_i32 s3, s7, s12
	s_add_i32 s1, s2, s1
	s_mul_i32 s0, s6, s12
	s_add_i32 s1, s1, s3
	s_lshl_b64 s[0:1], s[0:1], 3
	s_add_u32 s2, s8, s0
	s_addc_u32 s3, s9, s1
	s_lshl_b64 s[0:1], s[10:11], 3
	v_ashrrev_i32_e32 v1, 31, v0
	s_add_u32 s0, s2, s0
	v_lshlrev_b64 v[0:1], 3, v[0:1]
	s_addc_u32 s1, s3, s1
	v_mov_b32_e32 v7, s1
	v_add_co_u32_e64 v0, s[0:1], s0, v0
	v_addc_co_u32_e64 v1, s[0:1], v7, v1, s[0:1]
	s_waitcnt vmcnt(0)
	global_store_dwordx2 v[0:1], v[4:5], off
	v_cndmask_b32_e32 v1, v5, v6, vcc
	v_cndmask_b32_e64 v0, v4, 0, vcc
	global_store_dwordx2 v[2:3], v[0:1], off
.LBB12_2:
	s_endpgm
	.section	.rodata,"a",@progbits
	.p2align	6, 0x0
	.amdhsa_kernel _ZN9rocsolver6v33100L8set_diagIdidPKPdTnNSt9enable_ifIXoont18rocblas_is_complexIT_E18rocblas_is_complexIT1_EEiE4typeELi0EEEvPS7_llT2_lT0_lSC_b
		.amdhsa_group_segment_fixed_size 0
		.amdhsa_private_segment_fixed_size 0
		.amdhsa_kernarg_size 320
		.amdhsa_user_sgpr_count 6
		.amdhsa_user_sgpr_private_segment_buffer 1
		.amdhsa_user_sgpr_dispatch_ptr 0
		.amdhsa_user_sgpr_queue_ptr 0
		.amdhsa_user_sgpr_kernarg_segment_ptr 1
		.amdhsa_user_sgpr_dispatch_id 0
		.amdhsa_user_sgpr_flat_scratch_init 0
		.amdhsa_user_sgpr_kernarg_preload_length 0
		.amdhsa_user_sgpr_kernarg_preload_offset 0
		.amdhsa_user_sgpr_private_segment_size 0
		.amdhsa_uses_dynamic_stack 0
		.amdhsa_system_sgpr_private_segment_wavefront_offset 0
		.amdhsa_system_sgpr_workgroup_id_x 1
		.amdhsa_system_sgpr_workgroup_id_y 1
		.amdhsa_system_sgpr_workgroup_id_z 0
		.amdhsa_system_sgpr_workgroup_info 0
		.amdhsa_system_vgpr_workitem_id 1
		.amdhsa_next_free_vgpr 8
		.amdhsa_next_free_sgpr 17
		.amdhsa_accum_offset 8
		.amdhsa_reserve_vcc 1
		.amdhsa_reserve_flat_scratch 0
		.amdhsa_float_round_mode_32 0
		.amdhsa_float_round_mode_16_64 0
		.amdhsa_float_denorm_mode_32 3
		.amdhsa_float_denorm_mode_16_64 3
		.amdhsa_dx10_clamp 1
		.amdhsa_ieee_mode 1
		.amdhsa_fp16_overflow 0
		.amdhsa_tg_split 0
		.amdhsa_exception_fp_ieee_invalid_op 0
		.amdhsa_exception_fp_denorm_src 0
		.amdhsa_exception_fp_ieee_div_zero 0
		.amdhsa_exception_fp_ieee_overflow 0
		.amdhsa_exception_fp_ieee_underflow 0
		.amdhsa_exception_fp_ieee_inexact 0
		.amdhsa_exception_int_div_zero 0
	.end_amdhsa_kernel
	.section	.text._ZN9rocsolver6v33100L8set_diagIdidPKPdTnNSt9enable_ifIXoont18rocblas_is_complexIT_E18rocblas_is_complexIT1_EEiE4typeELi0EEEvPS7_llT2_lT0_lSC_b,"axG",@progbits,_ZN9rocsolver6v33100L8set_diagIdidPKPdTnNSt9enable_ifIXoont18rocblas_is_complexIT_E18rocblas_is_complexIT1_EEiE4typeELi0EEEvPS7_llT2_lT0_lSC_b,comdat
.Lfunc_end12:
	.size	_ZN9rocsolver6v33100L8set_diagIdidPKPdTnNSt9enable_ifIXoont18rocblas_is_complexIT_E18rocblas_is_complexIT1_EEiE4typeELi0EEEvPS7_llT2_lT0_lSC_b, .Lfunc_end12-_ZN9rocsolver6v33100L8set_diagIdidPKPdTnNSt9enable_ifIXoont18rocblas_is_complexIT_E18rocblas_is_complexIT1_EEiE4typeELi0EEEvPS7_llT2_lT0_lSC_b
                                        ; -- End function
	.section	.AMDGPU.csdata,"",@progbits
; Kernel info:
; codeLenInByte = 300
; NumSgprs: 21
; NumVgprs: 8
; NumAgprs: 0
; TotalNumVgprs: 8
; ScratchSize: 0
; MemoryBound: 0
; FloatMode: 240
; IeeeMode: 1
; LDSByteSize: 0 bytes/workgroup (compile time only)
; SGPRBlocks: 2
; VGPRBlocks: 0
; NumSGPRsForWavesPerEU: 21
; NumVGPRsForWavesPerEU: 8
; AccumOffset: 8
; Occupancy: 8
; WaveLimiterHint : 1
; COMPUTE_PGM_RSRC2:SCRATCH_EN: 0
; COMPUTE_PGM_RSRC2:USER_SGPR: 6
; COMPUTE_PGM_RSRC2:TRAP_HANDLER: 0
; COMPUTE_PGM_RSRC2:TGID_X_EN: 1
; COMPUTE_PGM_RSRC2:TGID_Y_EN: 1
; COMPUTE_PGM_RSRC2:TGID_Z_EN: 0
; COMPUTE_PGM_RSRC2:TIDIG_COMP_CNT: 1
; COMPUTE_PGM_RSRC3_GFX90A:ACCUM_OFFSET: 1
; COMPUTE_PGM_RSRC3_GFX90A:TG_SPLIT: 0
	.section	.text._ZN9rocsolver6v33100L13conj_in_placeIdiPdTnNSt9enable_ifIXnt18rocblas_is_complexIT_EEiE4typeELi0EEEvT0_S7_T1_lS7_l,"axG",@progbits,_ZN9rocsolver6v33100L13conj_in_placeIdiPdTnNSt9enable_ifIXnt18rocblas_is_complexIT_EEiE4typeELi0EEEvT0_S7_T1_lS7_l,comdat
	.globl	_ZN9rocsolver6v33100L13conj_in_placeIdiPdTnNSt9enable_ifIXnt18rocblas_is_complexIT_EEiE4typeELi0EEEvT0_S7_T1_lS7_l ; -- Begin function _ZN9rocsolver6v33100L13conj_in_placeIdiPdTnNSt9enable_ifIXnt18rocblas_is_complexIT_EEiE4typeELi0EEEvT0_S7_T1_lS7_l
	.p2align	8
	.type	_ZN9rocsolver6v33100L13conj_in_placeIdiPdTnNSt9enable_ifIXnt18rocblas_is_complexIT_EEiE4typeELi0EEEvT0_S7_T1_lS7_l,@function
_ZN9rocsolver6v33100L13conj_in_placeIdiPdTnNSt9enable_ifIXnt18rocblas_is_complexIT_EEiE4typeELi0EEEvT0_S7_T1_lS7_l: ; @_ZN9rocsolver6v33100L13conj_in_placeIdiPdTnNSt9enable_ifIXnt18rocblas_is_complexIT_EEiE4typeELi0EEEvT0_S7_T1_lS7_l
; %bb.0:
	s_endpgm
	.section	.rodata,"a",@progbits
	.p2align	6, 0x0
	.amdhsa_kernel _ZN9rocsolver6v33100L13conj_in_placeIdiPdTnNSt9enable_ifIXnt18rocblas_is_complexIT_EEiE4typeELi0EEEvT0_S7_T1_lS7_l
		.amdhsa_group_segment_fixed_size 0
		.amdhsa_private_segment_fixed_size 0
		.amdhsa_kernarg_size 40
		.amdhsa_user_sgpr_count 6
		.amdhsa_user_sgpr_private_segment_buffer 1
		.amdhsa_user_sgpr_dispatch_ptr 0
		.amdhsa_user_sgpr_queue_ptr 0
		.amdhsa_user_sgpr_kernarg_segment_ptr 1
		.amdhsa_user_sgpr_dispatch_id 0
		.amdhsa_user_sgpr_flat_scratch_init 0
		.amdhsa_user_sgpr_kernarg_preload_length 0
		.amdhsa_user_sgpr_kernarg_preload_offset 0
		.amdhsa_user_sgpr_private_segment_size 0
		.amdhsa_uses_dynamic_stack 0
		.amdhsa_system_sgpr_private_segment_wavefront_offset 0
		.amdhsa_system_sgpr_workgroup_id_x 1
		.amdhsa_system_sgpr_workgroup_id_y 0
		.amdhsa_system_sgpr_workgroup_id_z 0
		.amdhsa_system_sgpr_workgroup_info 0
		.amdhsa_system_vgpr_workitem_id 0
		.amdhsa_next_free_vgpr 1
		.amdhsa_next_free_sgpr 0
		.amdhsa_accum_offset 4
		.amdhsa_reserve_vcc 0
		.amdhsa_reserve_flat_scratch 0
		.amdhsa_float_round_mode_32 0
		.amdhsa_float_round_mode_16_64 0
		.amdhsa_float_denorm_mode_32 3
		.amdhsa_float_denorm_mode_16_64 3
		.amdhsa_dx10_clamp 1
		.amdhsa_ieee_mode 1
		.amdhsa_fp16_overflow 0
		.amdhsa_tg_split 0
		.amdhsa_exception_fp_ieee_invalid_op 0
		.amdhsa_exception_fp_denorm_src 0
		.amdhsa_exception_fp_ieee_div_zero 0
		.amdhsa_exception_fp_ieee_overflow 0
		.amdhsa_exception_fp_ieee_underflow 0
		.amdhsa_exception_fp_ieee_inexact 0
		.amdhsa_exception_int_div_zero 0
	.end_amdhsa_kernel
	.section	.text._ZN9rocsolver6v33100L13conj_in_placeIdiPdTnNSt9enable_ifIXnt18rocblas_is_complexIT_EEiE4typeELi0EEEvT0_S7_T1_lS7_l,"axG",@progbits,_ZN9rocsolver6v33100L13conj_in_placeIdiPdTnNSt9enable_ifIXnt18rocblas_is_complexIT_EEiE4typeELi0EEEvT0_S7_T1_lS7_l,comdat
.Lfunc_end13:
	.size	_ZN9rocsolver6v33100L13conj_in_placeIdiPdTnNSt9enable_ifIXnt18rocblas_is_complexIT_EEiE4typeELi0EEEvT0_S7_T1_lS7_l, .Lfunc_end13-_ZN9rocsolver6v33100L13conj_in_placeIdiPdTnNSt9enable_ifIXnt18rocblas_is_complexIT_EEiE4typeELi0EEEvT0_S7_T1_lS7_l
                                        ; -- End function
	.section	.AMDGPU.csdata,"",@progbits
; Kernel info:
; codeLenInByte = 4
; NumSgprs: 4
; NumVgprs: 0
; NumAgprs: 0
; TotalNumVgprs: 0
; ScratchSize: 0
; MemoryBound: 0
; FloatMode: 240
; IeeeMode: 1
; LDSByteSize: 0 bytes/workgroup (compile time only)
; SGPRBlocks: 0
; VGPRBlocks: 0
; NumSGPRsForWavesPerEU: 4
; NumVGPRsForWavesPerEU: 1
; AccumOffset: 4
; Occupancy: 8
; WaveLimiterHint : 0
; COMPUTE_PGM_RSRC2:SCRATCH_EN: 0
; COMPUTE_PGM_RSRC2:USER_SGPR: 6
; COMPUTE_PGM_RSRC2:TRAP_HANDLER: 0
; COMPUTE_PGM_RSRC2:TGID_X_EN: 1
; COMPUTE_PGM_RSRC2:TGID_Y_EN: 0
; COMPUTE_PGM_RSRC2:TGID_Z_EN: 0
; COMPUTE_PGM_RSRC2:TIDIG_COMP_CNT: 0
; COMPUTE_PGM_RSRC3_GFX90A:ACCUM_OFFSET: 0
; COMPUTE_PGM_RSRC3_GFX90A:TG_SPLIT: 0
	.section	.text._ZN9rocsolver6v33100L16larf_left_kernelILi1024EdiPKPdEEvT1_S5_T2_lS5_lPKT0_lS6_lS5_l,"axG",@progbits,_ZN9rocsolver6v33100L16larf_left_kernelILi1024EdiPKPdEEvT1_S5_T2_lS5_lPKT0_lS6_lS5_l,comdat
	.globl	_ZN9rocsolver6v33100L16larf_left_kernelILi1024EdiPKPdEEvT1_S5_T2_lS5_lPKT0_lS6_lS5_l ; -- Begin function _ZN9rocsolver6v33100L16larf_left_kernelILi1024EdiPKPdEEvT1_S5_T2_lS5_lPKT0_lS6_lS5_l
	.p2align	8
	.type	_ZN9rocsolver6v33100L16larf_left_kernelILi1024EdiPKPdEEvT1_S5_T2_lS5_lPKT0_lS6_lS5_l,@function
_ZN9rocsolver6v33100L16larf_left_kernelILi1024EdiPKPdEEvT1_S5_T2_lS5_lPKT0_lS6_lS5_l: ; @_ZN9rocsolver6v33100L16larf_left_kernelILi1024EdiPKPdEEvT1_S5_T2_lS5_lPKT0_lS6_lS5_l
; %bb.0:
	s_load_dwordx8 s[12:19], s[4:5], 0x28
	s_load_dword s22, s[4:5], 0x0
	s_load_dword s6, s[4:5], 0x48
	s_ashr_i32 s9, s8, 31
	s_lshl_b64 s[20:21], s[8:9], 3
	s_waitcnt lgkmcnt(0)
	s_add_u32 s0, s16, s20
	s_addc_u32 s1, s17, s21
	s_load_dwordx2 s[2:3], s[0:1], 0x0
	v_cmp_gt_i32_e64 s[0:1], s22, v0
	v_pk_mov_b32 v[2:3], 0, 0
	s_mul_hi_i32 s11, s7, s6
	s_mul_i32 s10, s7, s6
	s_and_saveexec_b64 s[6:7], s[0:1]
	s_cbranch_execz .LBB14_6
; %bb.1:
	s_load_dword s16, s[4:5], 0x18
	s_load_dwordx4 s[24:27], s[4:5], 0x8
	s_sub_i32 s4, 1, s22
	v_lshl_add_u32 v1, v0, 3, 0
	v_add_u32_e32 v1, 0x80, v1
	s_waitcnt lgkmcnt(0)
	s_ashr_i32 s17, s16, 31
	s_mul_i32 s23, s4, s16
	v_cmp_lt_i64_e64 s[4:5], s[16:17], 1
	s_and_b64 s[4:5], s[4:5], exec
	s_cselect_b32 s4, s23, 0
	s_ashr_i32 s5, s4, 31
	s_add_u32 s20, s24, s20
	s_addc_u32 s21, s25, s21
	s_load_dwordx2 s[20:21], s[20:21], 0x0
	v_mad_i64_i32 v[2:3], s[24:25], s16, v0, 0
	s_lshl_b64 s[24:25], s[26:27], 3
	s_lshl_b64 s[4:5], s[4:5], 3
	s_waitcnt lgkmcnt(0)
	s_add_u32 s4, s20, s4
	s_addc_u32 s5, s21, s5
	s_add_u32 s4, s4, s24
	v_lshlrev_b64 v[2:3], 3, v[2:3]
	s_addc_u32 s5, s5, s25
	v_mov_b32_e32 v4, s5
	v_add_co_u32_e32 v2, vcc, s4, v2
	s_lshl_b64 s[16:17], s[16:17], 13
	v_addc_co_u32_e32 v3, vcc, v4, v3, vcc
	s_mov_b64 s[4:5], 0
	v_mov_b32_e32 v4, s17
	v_mov_b32_e32 v5, v1
	;; [unrolled: 1-line block ×3, first 2 shown]
.LBB14_2:                               ; =>This Inner Loop Header: Depth=1
	global_load_dwordx2 v[8:9], v[2:3], off
	v_add_co_u32_e32 v2, vcc, s16, v2
	v_add_u32_e32 v6, 0x400, v6
	v_addc_co_u32_e32 v3, vcc, v3, v4, vcc
	v_cmp_le_i32_e32 vcc, s22, v6
	s_or_b64 s[4:5], vcc, s[4:5]
	s_waitcnt vmcnt(0)
	ds_write_b64 v5, v[8:9]
	v_add_u32_e32 v5, 0x2000, v5
	s_andn2_b64 exec, exec, s[4:5]
	s_cbranch_execnz .LBB14_2
; %bb.3:
	s_or_b64 exec, exec, s[4:5]
	s_lshl_b64 s[4:5], s[10:11], 3
	s_lshl_b64 s[16:17], s[18:19], 3
	s_add_u32 s4, s4, s16
	s_addc_u32 s5, s5, s17
	s_add_u32 s4, s2, s4
	v_lshlrev_b32_e32 v2, 3, v0
	s_addc_u32 s5, s3, s5
	v_mov_b32_e32 v3, s5
	v_add_co_u32_e32 v4, vcc, s4, v2
	v_addc_co_u32_e32 v5, vcc, 0, v3, vcc
	s_mov_b64 s[4:5], 0
	v_pk_mov_b32 v[2:3], 0, 0
	v_mov_b32_e32 v6, v0
.LBB14_4:                               ; =>This Inner Loop Header: Depth=1
	global_load_dwordx2 v[8:9], v[4:5], off
	ds_read_b64 v[10:11], v1
	v_add_co_u32_e32 v4, vcc, 0x2000, v4
	v_add_u32_e32 v6, 0x400, v6
	v_addc_co_u32_e32 v5, vcc, 0, v5, vcc
	v_cmp_le_i32_e32 vcc, s22, v6
	v_add_u32_e32 v1, 0x2000, v1
	s_or_b64 s[4:5], vcc, s[4:5]
	s_waitcnt vmcnt(0) lgkmcnt(0)
	v_mul_f64 v[8:9], v[8:9], v[10:11]
	v_add_f64 v[2:3], v[2:3], v[8:9]
	s_andn2_b64 exec, exec, s[4:5]
	s_cbranch_execnz .LBB14_4
; %bb.5:
	s_or_b64 exec, exec, s[4:5]
.LBB14_6:
	s_or_b64 exec, exec, s[6:7]
	v_mbcnt_lo_u32_b32 v1, -1, 0
	v_mbcnt_hi_u32_b32 v1, -1, v1
	v_and_b32_e32 v6, 63, v1
	v_cmp_ne_u32_e32 vcc, 63, v6
	v_addc_co_u32_e32 v4, vcc, 0, v1, vcc
	v_lshlrev_b32_e32 v5, 2, v4
	ds_bpermute_b32 v4, v5, v2
	ds_bpermute_b32 v5, v5, v3
	v_cmp_gt_u32_e32 vcc, 62, v6
	s_waitcnt lgkmcnt(0)
	v_add_f64 v[2:3], v[2:3], v[4:5]
	v_cndmask_b32_e64 v4, 0, 1, vcc
	v_lshlrev_b32_e32 v4, 1, v4
	v_add_lshl_u32 v5, v4, v1, 2
	ds_bpermute_b32 v4, v5, v2
	ds_bpermute_b32 v5, v5, v3
	v_cmp_gt_u32_e32 vcc, 60, v6
	s_waitcnt lgkmcnt(0)
	v_add_f64 v[2:3], v[2:3], v[4:5]
	v_cndmask_b32_e64 v4, 0, 1, vcc
	v_lshlrev_b32_e32 v4, 2, v4
	v_add_lshl_u32 v5, v4, v1, 2
	;; [unrolled: 8-line block ×5, first 2 shown]
	ds_bpermute_b32 v4, v1, v2
	ds_bpermute_b32 v5, v1, v3
	v_and_b32_e32 v1, 63, v0
	v_cmp_eq_u32_e32 vcc, 0, v1
	s_waitcnt lgkmcnt(0)
	v_add_f64 v[2:3], v[2:3], v[4:5]
	s_and_saveexec_b64 s[4:5], vcc
	s_cbranch_execz .LBB14_8
; %bb.7:
	v_lshrrev_b32_e32 v1, 3, v0
	v_add_u32_e32 v1, 0, v1
	ds_write_b64 v1, v[2:3]
.LBB14_8:
	s_or_b64 exec, exec, s[4:5]
	v_cmp_eq_u32_e32 vcc, 0, v0
	s_waitcnt lgkmcnt(0)
	s_barrier
	s_and_saveexec_b64 s[4:5], vcc
	s_cbranch_execz .LBB14_10
; %bb.9:
	v_mov_b32_e32 v1, 0
	ds_read2_b64 v[4:7], v1 offset0:1 offset1:2
	ds_read2_b64 v[8:11], v1 offset0:3 offset1:4
	;; [unrolled: 1-line block ×4, first 2 shown]
	s_waitcnt lgkmcnt(3)
	v_add_f64 v[2:3], v[2:3], v[4:5]
	v_add_f64 v[2:3], v[2:3], v[6:7]
	s_waitcnt lgkmcnt(2)
	v_add_f64 v[2:3], v[2:3], v[8:9]
	v_add_f64 v[2:3], v[2:3], v[10:11]
	s_waitcnt lgkmcnt(1)
	v_add_f64 v[6:7], v[2:3], v[12:13]
	ds_read2_b64 v[2:5], v1 offset0:9 offset1:10
	v_add_f64 v[6:7], v[6:7], v[14:15]
	s_waitcnt lgkmcnt(1)
	v_add_f64 v[6:7], v[6:7], v[16:17]
	v_add_f64 v[10:11], v[6:7], v[18:19]
	ds_read2_b64 v[6:9], v1 offset0:11 offset1:12
	s_waitcnt lgkmcnt(1)
	v_add_f64 v[2:3], v[10:11], v[2:3]
	ds_read2_b64 v[10:13], v1 offset0:13 offset1:14
	v_add_f64 v[2:3], v[2:3], v[4:5]
	ds_read_b64 v[4:5], v1 offset:120
	s_waitcnt lgkmcnt(2)
	v_add_f64 v[2:3], v[2:3], v[6:7]
	v_add_f64 v[2:3], v[2:3], v[8:9]
	s_waitcnt lgkmcnt(1)
	v_add_f64 v[2:3], v[2:3], v[10:11]
	v_add_f64 v[2:3], v[2:3], v[12:13]
	s_waitcnt lgkmcnt(0)
	v_add_f64 v[2:3], v[2:3], v[4:5]
	ds_write_b64 v1, v[2:3]
.LBB14_10:
	s_or_b64 exec, exec, s[4:5]
	s_waitcnt lgkmcnt(0)
	s_barrier
	s_and_saveexec_b64 s[4:5], s[0:1]
	s_cbranch_execz .LBB14_13
; %bb.11:
	s_mul_i32 s0, s8, s15
	s_mul_hi_u32 s1, s8, s14
	s_add_i32 s0, s1, s0
	s_mul_i32 s1, s9, s14
	s_add_i32 s1, s0, s1
	s_mul_i32 s0, s8, s14
	s_lshl_b64 s[0:1], s[0:1], 3
	s_add_u32 s0, s12, s0
	s_addc_u32 s1, s13, s1
	v_mov_b32_e32 v1, 0
	s_load_dwordx2 s[0:1], s[0:1], 0x0
	ds_read_b64 v[2:3], v1
	s_lshl_b64 s[4:5], s[18:19], 3
	v_lshlrev_b32_e32 v4, 3, v0
	v_add_u32_e32 v1, 0, v4
	v_add_u32_e32 v1, 0x80, v1
	s_waitcnt lgkmcnt(0)
	v_mul_f64 v[2:3], v[2:3], -s[0:1]
	s_lshl_b64 s[0:1], s[10:11], 3
	s_add_u32 s0, s0, s4
	s_addc_u32 s1, s1, s5
	s_add_u32 s0, s2, s0
	s_addc_u32 s1, s3, s1
	v_mov_b32_e32 v5, s1
	v_add_co_u32_e32 v4, vcc, s0, v4
	v_addc_co_u32_e32 v5, vcc, 0, v5, vcc
	s_mov_b64 s[0:1], 0
.LBB14_12:                              ; =>This Inner Loop Header: Depth=1
	global_load_dwordx2 v[6:7], v[4:5], off
	ds_read_b64 v[8:9], v1
	v_add_u32_e32 v0, 0x400, v0
	v_cmp_le_i32_e32 vcc, s22, v0
	s_or_b64 s[0:1], vcc, s[0:1]
	v_add_u32_e32 v1, 0x2000, v1
	s_waitcnt vmcnt(0) lgkmcnt(0)
	v_fmac_f64_e32 v[6:7], v[2:3], v[8:9]
	global_store_dwordx2 v[4:5], v[6:7], off
	v_add_co_u32_e32 v4, vcc, 0x2000, v4
	v_addc_co_u32_e32 v5, vcc, 0, v5, vcc
	s_andn2_b64 exec, exec, s[0:1]
	s_cbranch_execnz .LBB14_12
.LBB14_13:
	s_endpgm
	.section	.rodata,"a",@progbits
	.p2align	6, 0x0
	.amdhsa_kernel _ZN9rocsolver6v33100L16larf_left_kernelILi1024EdiPKPdEEvT1_S5_T2_lS5_lPKT0_lS6_lS5_l
		.amdhsa_group_segment_fixed_size 0
		.amdhsa_private_segment_fixed_size 0
		.amdhsa_kernarg_size 88
		.amdhsa_user_sgpr_count 6
		.amdhsa_user_sgpr_private_segment_buffer 1
		.amdhsa_user_sgpr_dispatch_ptr 0
		.amdhsa_user_sgpr_queue_ptr 0
		.amdhsa_user_sgpr_kernarg_segment_ptr 1
		.amdhsa_user_sgpr_dispatch_id 0
		.amdhsa_user_sgpr_flat_scratch_init 0
		.amdhsa_user_sgpr_kernarg_preload_length 0
		.amdhsa_user_sgpr_kernarg_preload_offset 0
		.amdhsa_user_sgpr_private_segment_size 0
		.amdhsa_uses_dynamic_stack 0
		.amdhsa_system_sgpr_private_segment_wavefront_offset 0
		.amdhsa_system_sgpr_workgroup_id_x 1
		.amdhsa_system_sgpr_workgroup_id_y 1
		.amdhsa_system_sgpr_workgroup_id_z 1
		.amdhsa_system_sgpr_workgroup_info 0
		.amdhsa_system_vgpr_workitem_id 0
		.amdhsa_next_free_vgpr 20
		.amdhsa_next_free_sgpr 28
		.amdhsa_accum_offset 20
		.amdhsa_reserve_vcc 1
		.amdhsa_reserve_flat_scratch 0
		.amdhsa_float_round_mode_32 0
		.amdhsa_float_round_mode_16_64 0
		.amdhsa_float_denorm_mode_32 3
		.amdhsa_float_denorm_mode_16_64 3
		.amdhsa_dx10_clamp 1
		.amdhsa_ieee_mode 1
		.amdhsa_fp16_overflow 0
		.amdhsa_tg_split 0
		.amdhsa_exception_fp_ieee_invalid_op 0
		.amdhsa_exception_fp_denorm_src 0
		.amdhsa_exception_fp_ieee_div_zero 0
		.amdhsa_exception_fp_ieee_overflow 0
		.amdhsa_exception_fp_ieee_underflow 0
		.amdhsa_exception_fp_ieee_inexact 0
		.amdhsa_exception_int_div_zero 0
	.end_amdhsa_kernel
	.section	.text._ZN9rocsolver6v33100L16larf_left_kernelILi1024EdiPKPdEEvT1_S5_T2_lS5_lPKT0_lS6_lS5_l,"axG",@progbits,_ZN9rocsolver6v33100L16larf_left_kernelILi1024EdiPKPdEEvT1_S5_T2_lS5_lPKT0_lS6_lS5_l,comdat
.Lfunc_end14:
	.size	_ZN9rocsolver6v33100L16larf_left_kernelILi1024EdiPKPdEEvT1_S5_T2_lS5_lPKT0_lS6_lS5_l, .Lfunc_end14-_ZN9rocsolver6v33100L16larf_left_kernelILi1024EdiPKPdEEvT1_S5_T2_lS5_lPKT0_lS6_lS5_l
                                        ; -- End function
	.section	.AMDGPU.csdata,"",@progbits
; Kernel info:
; codeLenInByte = 1280
; NumSgprs: 32
; NumVgprs: 20
; NumAgprs: 0
; TotalNumVgprs: 20
; ScratchSize: 0
; MemoryBound: 0
; FloatMode: 240
; IeeeMode: 1
; LDSByteSize: 0 bytes/workgroup (compile time only)
; SGPRBlocks: 3
; VGPRBlocks: 2
; NumSGPRsForWavesPerEU: 32
; NumVGPRsForWavesPerEU: 20
; AccumOffset: 20
; Occupancy: 8
; WaveLimiterHint : 0
; COMPUTE_PGM_RSRC2:SCRATCH_EN: 0
; COMPUTE_PGM_RSRC2:USER_SGPR: 6
; COMPUTE_PGM_RSRC2:TRAP_HANDLER: 0
; COMPUTE_PGM_RSRC2:TGID_X_EN: 1
; COMPUTE_PGM_RSRC2:TGID_Y_EN: 1
; COMPUTE_PGM_RSRC2:TGID_Z_EN: 1
; COMPUTE_PGM_RSRC2:TIDIG_COMP_CNT: 0
; COMPUTE_PGM_RSRC3_GFX90A:ACCUM_OFFSET: 4
; COMPUTE_PGM_RSRC3_GFX90A:TG_SPLIT: 0
	.section	.text._ZN9rocsolver6v33100L17larf_right_kernelILi1024EdiPKPdEEvT1_S5_T2_lS5_lPKT0_lS6_lS5_l,"axG",@progbits,_ZN9rocsolver6v33100L17larf_right_kernelILi1024EdiPKPdEEvT1_S5_T2_lS5_lPKT0_lS6_lS5_l,comdat
	.globl	_ZN9rocsolver6v33100L17larf_right_kernelILi1024EdiPKPdEEvT1_S5_T2_lS5_lPKT0_lS6_lS5_l ; -- Begin function _ZN9rocsolver6v33100L17larf_right_kernelILi1024EdiPKPdEEvT1_S5_T2_lS5_lPKT0_lS6_lS5_l
	.p2align	8
	.type	_ZN9rocsolver6v33100L17larf_right_kernelILi1024EdiPKPdEEvT1_S5_T2_lS5_lPKT0_lS6_lS5_l,@function
_ZN9rocsolver6v33100L17larf_right_kernelILi1024EdiPKPdEEvT1_S5_T2_lS5_lPKT0_lS6_lS5_l: ; @_ZN9rocsolver6v33100L17larf_right_kernelILi1024EdiPKPdEEvT1_S5_T2_lS5_lPKT0_lS6_lS5_l
; %bb.0:
	s_load_dwordx8 s[12:19], s[4:5], 0x28
	s_load_dword s22, s[4:5], 0x4
	s_load_dword s2, s[4:5], 0x48
	s_ashr_i32 s9, s8, 31
	s_lshl_b64 s[0:1], s[8:9], 3
	s_waitcnt lgkmcnt(0)
	s_add_u32 s10, s16, s0
	s_addc_u32 s11, s17, s1
	s_load_dwordx2 s[10:11], s[10:11], 0x0
	s_mov_b32 s6, s7
	s_ashr_i32 s7, s7, 31
	v_cmp_gt_i32_e32 vcc, s22, v0
	v_pk_mov_b32 v[2:3], 0, 0
	v_lshl_add_u32 v1, v0, 3, 0
	s_and_saveexec_b64 s[16:17], vcc
	s_cbranch_execz .LBB15_6
; %bb.1:
	s_load_dword s20, s[4:5], 0x18
	s_load_dwordx4 s[24:27], s[4:5], 0x8
	s_sub_i32 s3, 1, s22
	v_add_u32_e32 v6, 0x80, v1
	v_mov_b32_e32 v5, v6
	s_waitcnt lgkmcnt(0)
	s_ashr_i32 s21, s20, 31
	v_cmp_lt_i64_e64 s[4:5], s[20:21], 1
	s_mul_i32 s3, s3, s20
	s_and_b64 s[4:5], s[4:5], exec
	s_cselect_b32 s4, s3, 0
	s_ashr_i32 s5, s4, 31
	s_add_u32 s0, s24, s0
	s_addc_u32 s1, s25, s1
	s_load_dwordx2 s[0:1], s[0:1], 0x0
	v_mad_i64_i32 v[2:3], s[24:25], s20, v0, 0
	s_lshl_b64 s[24:25], s[26:27], 3
	s_lshl_b64 s[4:5], s[4:5], 3
	s_waitcnt lgkmcnt(0)
	s_add_u32 s0, s0, s4
	s_addc_u32 s1, s1, s5
	s_add_u32 s0, s0, s24
	v_lshlrev_b64 v[2:3], 3, v[2:3]
	s_addc_u32 s1, s1, s25
	v_mov_b32_e32 v4, s1
	v_add_co_u32_e64 v2, s[0:1], s0, v2
	s_lshl_b64 s[20:21], s[20:21], 13
	v_addc_co_u32_e64 v3, s[0:1], v4, v3, s[0:1]
	s_mov_b64 s[4:5], 0
	v_mov_b32_e32 v4, s21
	v_mov_b32_e32 v7, v0
.LBB15_2:                               ; =>This Inner Loop Header: Depth=1
	global_load_dwordx2 v[8:9], v[2:3], off
	v_add_co_u32_e64 v2, s[0:1], s20, v2
	v_add_u32_e32 v7, 0x400, v7
	v_addc_co_u32_e64 v3, s[0:1], v3, v4, s[0:1]
	v_cmp_le_i32_e64 s[0:1], s22, v7
	s_or_b64 s[4:5], s[0:1], s[4:5]
	s_waitcnt vmcnt(0)
	ds_write_b64 v5, v[8:9]
	v_add_u32_e32 v5, 0x2000, v5
	s_andn2_b64 exec, exec, s[4:5]
	s_cbranch_execnz .LBB15_2
; %bb.3:
	s_or_b64 exec, exec, s[4:5]
	v_mad_i64_i32 v[2:3], s[0:1], s2, v0, 0
	s_ashr_i32 s3, s2, 31
	s_lshl_b64 s[0:1], s[18:19], 3
	s_lshl_b64 s[4:5], s[6:7], 3
	s_add_u32 s4, s10, s4
	s_addc_u32 s5, s11, s5
	s_add_u32 s0, s4, s0
	v_lshlrev_b64 v[2:3], 3, v[2:3]
	s_addc_u32 s1, s5, s1
	v_mov_b32_e32 v5, s1
	v_add_co_u32_e64 v4, s[0:1], s0, v2
	s_lshl_b64 s[20:21], s[2:3], 13
	v_addc_co_u32_e64 v5, s[0:1], v5, v3, s[0:1]
	s_mov_b64 s[4:5], 0
	v_pk_mov_b32 v[2:3], 0, 0
	v_mov_b32_e32 v7, s21
	v_mov_b32_e32 v8, v0
.LBB15_4:                               ; =>This Inner Loop Header: Depth=1
	global_load_dwordx2 v[10:11], v[4:5], off
	ds_read_b64 v[12:13], v6
	v_add_co_u32_e64 v4, s[0:1], s20, v4
	v_add_u32_e32 v8, 0x400, v8
	v_addc_co_u32_e64 v5, s[0:1], v5, v7, s[0:1]
	v_cmp_le_i32_e64 s[0:1], s22, v8
	v_add_u32_e32 v6, 0x2000, v6
	s_or_b64 s[4:5], s[0:1], s[4:5]
	s_waitcnt vmcnt(0) lgkmcnt(0)
	v_mul_f64 v[10:11], v[10:11], v[12:13]
	v_add_f64 v[2:3], v[2:3], v[10:11]
	s_andn2_b64 exec, exec, s[4:5]
	s_cbranch_execnz .LBB15_4
; %bb.5:
	s_or_b64 exec, exec, s[4:5]
.LBB15_6:
	s_or_b64 exec, exec, s[16:17]
	v_mbcnt_lo_u32_b32 v4, -1, 0
	v_mbcnt_hi_u32_b32 v6, -1, v4
	v_and_b32_e32 v7, 63, v6
	v_cmp_ne_u32_e64 s[0:1], 63, v7
	v_addc_co_u32_e64 v4, s[0:1], 0, v6, s[0:1]
	v_lshlrev_b32_e32 v5, 2, v4
	ds_bpermute_b32 v4, v5, v2
	ds_bpermute_b32 v5, v5, v3
	v_cmp_gt_u32_e64 s[0:1], 62, v7
	s_waitcnt lgkmcnt(0)
	v_add_f64 v[2:3], v[2:3], v[4:5]
	v_cndmask_b32_e64 v4, 0, 1, s[0:1]
	v_lshlrev_b32_e32 v4, 1, v4
	v_add_lshl_u32 v5, v4, v6, 2
	ds_bpermute_b32 v4, v5, v2
	ds_bpermute_b32 v5, v5, v3
	v_cmp_gt_u32_e64 s[0:1], 60, v7
	s_waitcnt lgkmcnt(0)
	v_add_f64 v[2:3], v[2:3], v[4:5]
	v_cndmask_b32_e64 v4, 0, 1, s[0:1]
	v_lshlrev_b32_e32 v4, 2, v4
	v_add_lshl_u32 v5, v4, v6, 2
	;; [unrolled: 8-line block ×5, first 2 shown]
	ds_bpermute_b32 v4, v5, v2
	ds_bpermute_b32 v5, v5, v3
	s_waitcnt lgkmcnt(0)
	v_add_f64 v[2:3], v[2:3], v[4:5]
	v_and_b32_e32 v4, 63, v0
	v_cmp_eq_u32_e64 s[0:1], 0, v4
	s_and_saveexec_b64 s[4:5], s[0:1]
	s_cbranch_execz .LBB15_8
; %bb.7:
	v_lshrrev_b32_e32 v4, 3, v0
	v_add_u32_e32 v4, 0, v4
	ds_write_b64 v4, v[2:3]
.LBB15_8:
	s_or_b64 exec, exec, s[4:5]
	v_cmp_eq_u32_e64 s[0:1], 0, v0
	s_waitcnt lgkmcnt(0)
	s_barrier
	s_and_saveexec_b64 s[4:5], s[0:1]
	s_cbranch_execz .LBB15_10
; %bb.9:
	v_mov_b32_e32 v20, 0
	ds_read2_b64 v[4:7], v20 offset0:1 offset1:2
	ds_read2_b64 v[8:11], v20 offset0:3 offset1:4
	;; [unrolled: 1-line block ×4, first 2 shown]
	s_waitcnt lgkmcnt(3)
	v_add_f64 v[2:3], v[2:3], v[4:5]
	v_add_f64 v[2:3], v[2:3], v[6:7]
	s_waitcnt lgkmcnt(2)
	v_add_f64 v[2:3], v[2:3], v[8:9]
	v_add_f64 v[2:3], v[2:3], v[10:11]
	s_waitcnt lgkmcnt(1)
	v_add_f64 v[6:7], v[2:3], v[12:13]
	ds_read2_b64 v[2:5], v20 offset0:9 offset1:10
	v_add_f64 v[6:7], v[6:7], v[14:15]
	s_waitcnt lgkmcnt(1)
	v_add_f64 v[6:7], v[6:7], v[16:17]
	v_add_f64 v[10:11], v[6:7], v[18:19]
	ds_read2_b64 v[6:9], v20 offset0:11 offset1:12
	s_waitcnt lgkmcnt(1)
	v_add_f64 v[2:3], v[10:11], v[2:3]
	ds_read2_b64 v[10:13], v20 offset0:13 offset1:14
	v_add_f64 v[2:3], v[2:3], v[4:5]
	ds_read_b64 v[4:5], v20 offset:120
	s_waitcnt lgkmcnt(2)
	v_add_f64 v[2:3], v[2:3], v[6:7]
	v_add_f64 v[2:3], v[2:3], v[8:9]
	s_waitcnt lgkmcnt(1)
	v_add_f64 v[2:3], v[2:3], v[10:11]
	v_add_f64 v[2:3], v[2:3], v[12:13]
	s_waitcnt lgkmcnt(0)
	v_add_f64 v[2:3], v[2:3], v[4:5]
	ds_write_b64 v20, v[2:3]
.LBB15_10:
	s_or_b64 exec, exec, s[4:5]
	s_waitcnt lgkmcnt(0)
	s_barrier
	s_and_saveexec_b64 s[0:1], vcc
	s_cbranch_execz .LBB15_13
; %bb.11:
	s_mul_i32 s0, s8, s15
	s_mul_hi_u32 s1, s8, s14
	s_add_i32 s0, s1, s0
	s_mul_i32 s1, s9, s14
	s_add_i32 s1, s0, s1
	s_mul_i32 s0, s8, s14
	s_lshl_b64 s[0:1], s[0:1], 3
	s_add_u32 s0, s12, s0
	s_addc_u32 s1, s13, s1
	v_mov_b32_e32 v2, 0
	s_load_dwordx2 s[0:1], s[0:1], 0x0
	ds_read_b64 v[2:3], v2
	s_ashr_i32 s3, s2, 31
	s_lshl_b64 s[4:5], s[6:7], 3
	v_add_u32_e32 v1, 0x80, v1
	s_waitcnt lgkmcnt(0)
	v_mul_f64 v[2:3], v[2:3], -s[0:1]
	v_mad_i64_i32 v[4:5], s[0:1], s2, v0, 0
	s_lshl_b64 s[0:1], s[18:19], 3
	s_add_u32 s4, s10, s4
	s_addc_u32 s5, s11, s5
	s_add_u32 s0, s4, s0
	v_lshlrev_b64 v[4:5], 3, v[4:5]
	s_addc_u32 s1, s5, s1
	v_mov_b32_e32 v6, s1
	v_add_co_u32_e32 v4, vcc, s0, v4
	s_lshl_b64 s[0:1], s[2:3], 13
	v_addc_co_u32_e32 v5, vcc, v6, v5, vcc
	s_mov_b64 s[2:3], 0
	v_mov_b32_e32 v6, s1
.LBB15_12:                              ; =>This Inner Loop Header: Depth=1
	global_load_dwordx2 v[8:9], v[4:5], off
	ds_read_b64 v[10:11], v1
	v_add_u32_e32 v0, 0x400, v0
	v_cmp_le_i32_e32 vcc, s22, v0
	s_or_b64 s[2:3], vcc, s[2:3]
	v_add_u32_e32 v1, 0x2000, v1
	s_waitcnt vmcnt(0) lgkmcnt(0)
	v_fmac_f64_e32 v[8:9], v[2:3], v[10:11]
	global_store_dwordx2 v[4:5], v[8:9], off
	v_add_co_u32_e32 v4, vcc, s0, v4
	v_addc_co_u32_e32 v5, vcc, v5, v6, vcc
	s_andn2_b64 exec, exec, s[2:3]
	s_cbranch_execnz .LBB15_12
.LBB15_13:
	s_endpgm
	.section	.rodata,"a",@progbits
	.p2align	6, 0x0
	.amdhsa_kernel _ZN9rocsolver6v33100L17larf_right_kernelILi1024EdiPKPdEEvT1_S5_T2_lS5_lPKT0_lS6_lS5_l
		.amdhsa_group_segment_fixed_size 0
		.amdhsa_private_segment_fixed_size 0
		.amdhsa_kernarg_size 88
		.amdhsa_user_sgpr_count 6
		.amdhsa_user_sgpr_private_segment_buffer 1
		.amdhsa_user_sgpr_dispatch_ptr 0
		.amdhsa_user_sgpr_queue_ptr 0
		.amdhsa_user_sgpr_kernarg_segment_ptr 1
		.amdhsa_user_sgpr_dispatch_id 0
		.amdhsa_user_sgpr_flat_scratch_init 0
		.amdhsa_user_sgpr_kernarg_preload_length 0
		.amdhsa_user_sgpr_kernarg_preload_offset 0
		.amdhsa_user_sgpr_private_segment_size 0
		.amdhsa_uses_dynamic_stack 0
		.amdhsa_system_sgpr_private_segment_wavefront_offset 0
		.amdhsa_system_sgpr_workgroup_id_x 1
		.amdhsa_system_sgpr_workgroup_id_y 1
		.amdhsa_system_sgpr_workgroup_id_z 1
		.amdhsa_system_sgpr_workgroup_info 0
		.amdhsa_system_vgpr_workitem_id 0
		.amdhsa_next_free_vgpr 21
		.amdhsa_next_free_sgpr 28
		.amdhsa_accum_offset 24
		.amdhsa_reserve_vcc 1
		.amdhsa_reserve_flat_scratch 0
		.amdhsa_float_round_mode_32 0
		.amdhsa_float_round_mode_16_64 0
		.amdhsa_float_denorm_mode_32 3
		.amdhsa_float_denorm_mode_16_64 3
		.amdhsa_dx10_clamp 1
		.amdhsa_ieee_mode 1
		.amdhsa_fp16_overflow 0
		.amdhsa_tg_split 0
		.amdhsa_exception_fp_ieee_invalid_op 0
		.amdhsa_exception_fp_denorm_src 0
		.amdhsa_exception_fp_ieee_div_zero 0
		.amdhsa_exception_fp_ieee_overflow 0
		.amdhsa_exception_fp_ieee_underflow 0
		.amdhsa_exception_fp_ieee_inexact 0
		.amdhsa_exception_int_div_zero 0
	.end_amdhsa_kernel
	.section	.text._ZN9rocsolver6v33100L17larf_right_kernelILi1024EdiPKPdEEvT1_S5_T2_lS5_lPKT0_lS6_lS5_l,"axG",@progbits,_ZN9rocsolver6v33100L17larf_right_kernelILi1024EdiPKPdEEvT1_S5_T2_lS5_lPKT0_lS6_lS5_l,comdat
.Lfunc_end15:
	.size	_ZN9rocsolver6v33100L17larf_right_kernelILi1024EdiPKPdEEvT1_S5_T2_lS5_lPKT0_lS6_lS5_l, .Lfunc_end15-_ZN9rocsolver6v33100L17larf_right_kernelILi1024EdiPKPdEEvT1_S5_T2_lS5_lPKT0_lS6_lS5_l
                                        ; -- End function
	.section	.AMDGPU.csdata,"",@progbits
; Kernel info:
; codeLenInByte = 1388
; NumSgprs: 32
; NumVgprs: 21
; NumAgprs: 0
; TotalNumVgprs: 21
; ScratchSize: 0
; MemoryBound: 0
; FloatMode: 240
; IeeeMode: 1
; LDSByteSize: 0 bytes/workgroup (compile time only)
; SGPRBlocks: 3
; VGPRBlocks: 2
; NumSGPRsForWavesPerEU: 32
; NumVGPRsForWavesPerEU: 21
; AccumOffset: 24
; Occupancy: 8
; WaveLimiterHint : 0
; COMPUTE_PGM_RSRC2:SCRATCH_EN: 0
; COMPUTE_PGM_RSRC2:USER_SGPR: 6
; COMPUTE_PGM_RSRC2:TRAP_HANDLER: 0
; COMPUTE_PGM_RSRC2:TGID_X_EN: 1
; COMPUTE_PGM_RSRC2:TGID_Y_EN: 1
; COMPUTE_PGM_RSRC2:TGID_Z_EN: 1
; COMPUTE_PGM_RSRC2:TIDIG_COMP_CNT: 0
; COMPUTE_PGM_RSRC3_GFX90A:ACCUM_OFFSET: 5
; COMPUTE_PGM_RSRC3_GFX90A:TG_SPLIT: 0
	.section	.text._ZN9rocsolver6v33100L9get_arrayIdiEEvPPT_S3_lT0_,"axG",@progbits,_ZN9rocsolver6v33100L9get_arrayIdiEEvPPT_S3_lT0_,comdat
	.globl	_ZN9rocsolver6v33100L9get_arrayIdiEEvPPT_S3_lT0_ ; -- Begin function _ZN9rocsolver6v33100L9get_arrayIdiEEvPPT_S3_lT0_
	.p2align	8
	.type	_ZN9rocsolver6v33100L9get_arrayIdiEEvPPT_S3_lT0_,@function
_ZN9rocsolver6v33100L9get_arrayIdiEEvPPT_S3_lT0_: ; @_ZN9rocsolver6v33100L9get_arrayIdiEEvPPT_S3_lT0_
; %bb.0:
	s_load_dword s0, s[4:5], 0x2c
	s_load_dword s1, s[4:5], 0x18
	s_waitcnt lgkmcnt(0)
	s_and_b32 s0, s0, 0xffff
	s_mul_i32 s6, s6, s0
	v_add_u32_e32 v0, s6, v0
	v_cmp_gt_i32_e32 vcc, s1, v0
	s_and_saveexec_b64 s[0:1], vcc
	s_cbranch_execz .LBB16_2
; %bb.1:
	s_load_dwordx2 s[6:7], s[4:5], 0x10
	s_load_dwordx4 s[0:3], s[4:5], 0x0
	v_ashrrev_i32_e32 v1, 31, v0
	s_waitcnt lgkmcnt(0)
	v_mul_lo_u32 v4, v0, s7
	v_mul_lo_u32 v5, v1, s6
	v_mad_u64_u32 v[2:3], s[4:5], v0, s6, 0
	v_add3_u32 v3, v3, v4, v5
	v_lshlrev_b64 v[2:3], 3, v[2:3]
	v_mov_b32_e32 v4, s3
	v_add_co_u32_e32 v2, vcc, s2, v2
	v_addc_co_u32_e32 v3, vcc, v4, v3, vcc
	v_lshlrev_b64 v[0:1], 3, v[0:1]
	v_mov_b32_e32 v4, s1
	v_add_co_u32_e32 v0, vcc, s0, v0
	v_addc_co_u32_e32 v1, vcc, v4, v1, vcc
	global_store_dwordx2 v[0:1], v[2:3], off
.LBB16_2:
	s_endpgm
	.section	.rodata,"a",@progbits
	.p2align	6, 0x0
	.amdhsa_kernel _ZN9rocsolver6v33100L9get_arrayIdiEEvPPT_S3_lT0_
		.amdhsa_group_segment_fixed_size 0
		.amdhsa_private_segment_fixed_size 0
		.amdhsa_kernarg_size 288
		.amdhsa_user_sgpr_count 6
		.amdhsa_user_sgpr_private_segment_buffer 1
		.amdhsa_user_sgpr_dispatch_ptr 0
		.amdhsa_user_sgpr_queue_ptr 0
		.amdhsa_user_sgpr_kernarg_segment_ptr 1
		.amdhsa_user_sgpr_dispatch_id 0
		.amdhsa_user_sgpr_flat_scratch_init 0
		.amdhsa_user_sgpr_kernarg_preload_length 0
		.amdhsa_user_sgpr_kernarg_preload_offset 0
		.amdhsa_user_sgpr_private_segment_size 0
		.amdhsa_uses_dynamic_stack 0
		.amdhsa_system_sgpr_private_segment_wavefront_offset 0
		.amdhsa_system_sgpr_workgroup_id_x 1
		.amdhsa_system_sgpr_workgroup_id_y 0
		.amdhsa_system_sgpr_workgroup_id_z 0
		.amdhsa_system_sgpr_workgroup_info 0
		.amdhsa_system_vgpr_workitem_id 0
		.amdhsa_next_free_vgpr 6
		.amdhsa_next_free_sgpr 8
		.amdhsa_accum_offset 8
		.amdhsa_reserve_vcc 1
		.amdhsa_reserve_flat_scratch 0
		.amdhsa_float_round_mode_32 0
		.amdhsa_float_round_mode_16_64 0
		.amdhsa_float_denorm_mode_32 3
		.amdhsa_float_denorm_mode_16_64 3
		.amdhsa_dx10_clamp 1
		.amdhsa_ieee_mode 1
		.amdhsa_fp16_overflow 0
		.amdhsa_tg_split 0
		.amdhsa_exception_fp_ieee_invalid_op 0
		.amdhsa_exception_fp_denorm_src 0
		.amdhsa_exception_fp_ieee_div_zero 0
		.amdhsa_exception_fp_ieee_overflow 0
		.amdhsa_exception_fp_ieee_underflow 0
		.amdhsa_exception_fp_ieee_inexact 0
		.amdhsa_exception_int_div_zero 0
	.end_amdhsa_kernel
	.section	.text._ZN9rocsolver6v33100L9get_arrayIdiEEvPPT_S3_lT0_,"axG",@progbits,_ZN9rocsolver6v33100L9get_arrayIdiEEvPPT_S3_lT0_,comdat
.Lfunc_end16:
	.size	_ZN9rocsolver6v33100L9get_arrayIdiEEvPPT_S3_lT0_, .Lfunc_end16-_ZN9rocsolver6v33100L9get_arrayIdiEEvPPT_S3_lT0_
                                        ; -- End function
	.section	.AMDGPU.csdata,"",@progbits
; Kernel info:
; codeLenInByte = 156
; NumSgprs: 12
; NumVgprs: 6
; NumAgprs: 0
; TotalNumVgprs: 6
; ScratchSize: 0
; MemoryBound: 0
; FloatMode: 240
; IeeeMode: 1
; LDSByteSize: 0 bytes/workgroup (compile time only)
; SGPRBlocks: 1
; VGPRBlocks: 0
; NumSGPRsForWavesPerEU: 12
; NumVGPRsForWavesPerEU: 6
; AccumOffset: 8
; Occupancy: 8
; WaveLimiterHint : 0
; COMPUTE_PGM_RSRC2:SCRATCH_EN: 0
; COMPUTE_PGM_RSRC2:USER_SGPR: 6
; COMPUTE_PGM_RSRC2:TRAP_HANDLER: 0
; COMPUTE_PGM_RSRC2:TGID_X_EN: 1
; COMPUTE_PGM_RSRC2:TGID_Y_EN: 0
; COMPUTE_PGM_RSRC2:TGID_Z_EN: 0
; COMPUTE_PGM_RSRC2:TIDIG_COMP_CNT: 0
; COMPUTE_PGM_RSRC3_GFX90A:ACCUM_OFFSET: 1
; COMPUTE_PGM_RSRC3_GFX90A:TG_SPLIT: 0
	.section	.text._ZN9rocsolver6v33100L12restore_diagIdidPKPdEEvPT1_llT2_lT0_lS8_,"axG",@progbits,_ZN9rocsolver6v33100L12restore_diagIdidPKPdEEvPT1_llT2_lT0_lS8_,comdat
	.globl	_ZN9rocsolver6v33100L12restore_diagIdidPKPdEEvPT1_llT2_lT0_lS8_ ; -- Begin function _ZN9rocsolver6v33100L12restore_diagIdidPKPdEEvPT1_llT2_lT0_lS8_
	.p2align	8
	.type	_ZN9rocsolver6v33100L12restore_diagIdidPKPdEEvPT1_llT2_lT0_lS8_,@function
_ZN9rocsolver6v33100L12restore_diagIdidPKPdEEvPT1_llT2_lT0_lS8_: ; @_ZN9rocsolver6v33100L12restore_diagIdidPKPdEEvPT1_llT2_lT0_lS8_
; %bb.0:
	s_load_dword s0, s[4:5], 0x4c
	s_load_dword s1, s[4:5], 0x38
	v_bfe_u32 v0, v0, 10, 10
	s_waitcnt lgkmcnt(0)
	s_lshr_b32 s0, s0, 16
	s_mul_i32 s7, s7, s0
	v_add_u32_e32 v0, s7, v0
	v_cmp_gt_i32_e32 vcc, s1, v0
	s_and_saveexec_b64 s[0:1], vcc
	s_cbranch_execz .LBB17_2
; %bb.1:
	s_load_dwordx8 s[8:15], s[4:5], 0x0
	s_ashr_i32 s7, s6, 31
	s_lshl_b64 s[0:1], s[6:7], 3
	s_waitcnt lgkmcnt(0)
	s_add_u32 s0, s14, s0
	s_addc_u32 s1, s15, s1
	s_load_dwordx2 s[2:3], s[4:5], 0x20
	s_load_dwordx2 s[14:15], s[0:1], 0x0
	s_load_dword s16, s[4:5], 0x28
	s_mul_i32 s4, s6, s13
	s_mul_hi_u32 s5, s6, s12
	s_waitcnt lgkmcnt(0)
	s_lshl_b64 s[0:1], s[2:3], 3
	s_add_u32 s2, s14, s0
	s_addc_u32 s3, s15, s1
	s_add_i32 s0, s5, s4
	s_mul_i32 s1, s7, s12
	s_add_i32 s1, s0, s1
	s_mul_i32 s0, s6, s12
	s_lshl_b64 s[0:1], s[0:1], 3
	s_add_u32 s4, s8, s0
	s_addc_u32 s5, s9, s1
	s_lshl_b64 s[0:1], s[10:11], 3
	s_add_u32 s4, s4, s0
	s_addc_u32 s5, s5, s1
	v_mad_u64_u32 v[2:3], s[0:1], v0, s16, v[0:1]
	v_ashrrev_i32_e32 v1, 31, v0
	v_lshlrev_b64 v[0:1], 3, v[0:1]
	v_mov_b32_e32 v3, s5
	v_add_co_u32_e32 v0, vcc, s4, v0
	v_addc_co_u32_e32 v1, vcc, v3, v1, vcc
	global_load_dwordx2 v[0:1], v[0:1], off
	v_ashrrev_i32_e32 v3, 31, v2
	v_lshlrev_b64 v[2:3], 3, v[2:3]
	v_mov_b32_e32 v4, s3
	v_add_co_u32_e32 v2, vcc, s2, v2
	v_addc_co_u32_e32 v3, vcc, v4, v3, vcc
	s_waitcnt vmcnt(0)
	global_store_dwordx2 v[2:3], v[0:1], off
.LBB17_2:
	s_endpgm
	.section	.rodata,"a",@progbits
	.p2align	6, 0x0
	.amdhsa_kernel _ZN9rocsolver6v33100L12restore_diagIdidPKPdEEvPT1_llT2_lT0_lS8_
		.amdhsa_group_segment_fixed_size 0
		.amdhsa_private_segment_fixed_size 0
		.amdhsa_kernarg_size 320
		.amdhsa_user_sgpr_count 6
		.amdhsa_user_sgpr_private_segment_buffer 1
		.amdhsa_user_sgpr_dispatch_ptr 0
		.amdhsa_user_sgpr_queue_ptr 0
		.amdhsa_user_sgpr_kernarg_segment_ptr 1
		.amdhsa_user_sgpr_dispatch_id 0
		.amdhsa_user_sgpr_flat_scratch_init 0
		.amdhsa_user_sgpr_kernarg_preload_length 0
		.amdhsa_user_sgpr_kernarg_preload_offset 0
		.amdhsa_user_sgpr_private_segment_size 0
		.amdhsa_uses_dynamic_stack 0
		.amdhsa_system_sgpr_private_segment_wavefront_offset 0
		.amdhsa_system_sgpr_workgroup_id_x 1
		.amdhsa_system_sgpr_workgroup_id_y 1
		.amdhsa_system_sgpr_workgroup_id_z 0
		.amdhsa_system_sgpr_workgroup_info 0
		.amdhsa_system_vgpr_workitem_id 1
		.amdhsa_next_free_vgpr 5
		.amdhsa_next_free_sgpr 17
		.amdhsa_accum_offset 8
		.amdhsa_reserve_vcc 1
		.amdhsa_reserve_flat_scratch 0
		.amdhsa_float_round_mode_32 0
		.amdhsa_float_round_mode_16_64 0
		.amdhsa_float_denorm_mode_32 3
		.amdhsa_float_denorm_mode_16_64 3
		.amdhsa_dx10_clamp 1
		.amdhsa_ieee_mode 1
		.amdhsa_fp16_overflow 0
		.amdhsa_tg_split 0
		.amdhsa_exception_fp_ieee_invalid_op 0
		.amdhsa_exception_fp_denorm_src 0
		.amdhsa_exception_fp_ieee_div_zero 0
		.amdhsa_exception_fp_ieee_overflow 0
		.amdhsa_exception_fp_ieee_underflow 0
		.amdhsa_exception_fp_ieee_inexact 0
		.amdhsa_exception_int_div_zero 0
	.end_amdhsa_kernel
	.section	.text._ZN9rocsolver6v33100L12restore_diagIdidPKPdEEvPT1_llT2_lT0_lS8_,"axG",@progbits,_ZN9rocsolver6v33100L12restore_diagIdidPKPdEEvPT1_llT2_lT0_lS8_,comdat
.Lfunc_end17:
	.size	_ZN9rocsolver6v33100L12restore_diagIdidPKPdEEvPT1_llT2_lT0_lS8_, .Lfunc_end17-_ZN9rocsolver6v33100L12restore_diagIdidPKPdEEvPT1_llT2_lT0_lS8_
                                        ; -- End function
	.section	.AMDGPU.csdata,"",@progbits
; Kernel info:
; codeLenInByte = 248
; NumSgprs: 21
; NumVgprs: 5
; NumAgprs: 0
; TotalNumVgprs: 5
; ScratchSize: 0
; MemoryBound: 0
; FloatMode: 240
; IeeeMode: 1
; LDSByteSize: 0 bytes/workgroup (compile time only)
; SGPRBlocks: 2
; VGPRBlocks: 0
; NumSGPRsForWavesPerEU: 21
; NumVGPRsForWavesPerEU: 5
; AccumOffset: 8
; Occupancy: 8
; WaveLimiterHint : 1
; COMPUTE_PGM_RSRC2:SCRATCH_EN: 0
; COMPUTE_PGM_RSRC2:USER_SGPR: 6
; COMPUTE_PGM_RSRC2:TRAP_HANDLER: 0
; COMPUTE_PGM_RSRC2:TGID_X_EN: 1
; COMPUTE_PGM_RSRC2:TGID_Y_EN: 1
; COMPUTE_PGM_RSRC2:TGID_Z_EN: 0
; COMPUTE_PGM_RSRC2:TIDIG_COMP_CNT: 1
; COMPUTE_PGM_RSRC3_GFX90A:ACCUM_OFFSET: 1
; COMPUTE_PGM_RSRC3_GFX90A:TG_SPLIT: 0
	.section	.text._ZN9rocsolver6v33100L6iota_nI19rocblas_complex_numIfEEEvPT_jS4_,"axG",@progbits,_ZN9rocsolver6v33100L6iota_nI19rocblas_complex_numIfEEEvPT_jS4_,comdat
	.globl	_ZN9rocsolver6v33100L6iota_nI19rocblas_complex_numIfEEEvPT_jS4_ ; -- Begin function _ZN9rocsolver6v33100L6iota_nI19rocblas_complex_numIfEEEvPT_jS4_
	.p2align	8
	.type	_ZN9rocsolver6v33100L6iota_nI19rocblas_complex_numIfEEEvPT_jS4_,@function
_ZN9rocsolver6v33100L6iota_nI19rocblas_complex_numIfEEEvPT_jS4_: ; @_ZN9rocsolver6v33100L6iota_nI19rocblas_complex_numIfEEEvPT_jS4_
; %bb.0:
	s_load_dword s0, s[4:5], 0x8
	s_waitcnt lgkmcnt(0)
	v_cmp_gt_u32_e32 vcc, s0, v0
	s_and_saveexec_b64 s[0:1], vcc
	s_cbranch_execz .LBB18_2
; %bb.1:
	s_load_dwordx2 s[0:1], s[4:5], 0xc
	s_load_dwordx2 s[2:3], s[4:5], 0x0
	v_cvt_f32_ubyte0_e32 v2, v0
	v_mov_b32_e32 v3, 0
	v_lshlrev_b32_e32 v4, 3, v0
	s_waitcnt lgkmcnt(0)
	v_pk_add_f32 v[0:1], s[0:1], v[2:3]
	global_store_dwordx2 v4, v[0:1], s[2:3]
.LBB18_2:
	s_endpgm
	.section	.rodata,"a",@progbits
	.p2align	6, 0x0
	.amdhsa_kernel _ZN9rocsolver6v33100L6iota_nI19rocblas_complex_numIfEEEvPT_jS4_
		.amdhsa_group_segment_fixed_size 0
		.amdhsa_private_segment_fixed_size 0
		.amdhsa_kernarg_size 20
		.amdhsa_user_sgpr_count 6
		.amdhsa_user_sgpr_private_segment_buffer 1
		.amdhsa_user_sgpr_dispatch_ptr 0
		.amdhsa_user_sgpr_queue_ptr 0
		.amdhsa_user_sgpr_kernarg_segment_ptr 1
		.amdhsa_user_sgpr_dispatch_id 0
		.amdhsa_user_sgpr_flat_scratch_init 0
		.amdhsa_user_sgpr_kernarg_preload_length 0
		.amdhsa_user_sgpr_kernarg_preload_offset 0
		.amdhsa_user_sgpr_private_segment_size 0
		.amdhsa_uses_dynamic_stack 0
		.amdhsa_system_sgpr_private_segment_wavefront_offset 0
		.amdhsa_system_sgpr_workgroup_id_x 1
		.amdhsa_system_sgpr_workgroup_id_y 0
		.amdhsa_system_sgpr_workgroup_id_z 0
		.amdhsa_system_sgpr_workgroup_info 0
		.amdhsa_system_vgpr_workitem_id 0
		.amdhsa_next_free_vgpr 5
		.amdhsa_next_free_sgpr 6
		.amdhsa_accum_offset 8
		.amdhsa_reserve_vcc 1
		.amdhsa_reserve_flat_scratch 0
		.amdhsa_float_round_mode_32 0
		.amdhsa_float_round_mode_16_64 0
		.amdhsa_float_denorm_mode_32 3
		.amdhsa_float_denorm_mode_16_64 3
		.amdhsa_dx10_clamp 1
		.amdhsa_ieee_mode 1
		.amdhsa_fp16_overflow 0
		.amdhsa_tg_split 0
		.amdhsa_exception_fp_ieee_invalid_op 0
		.amdhsa_exception_fp_denorm_src 0
		.amdhsa_exception_fp_ieee_div_zero 0
		.amdhsa_exception_fp_ieee_overflow 0
		.amdhsa_exception_fp_ieee_underflow 0
		.amdhsa_exception_fp_ieee_inexact 0
		.amdhsa_exception_int_div_zero 0
	.end_amdhsa_kernel
	.section	.text._ZN9rocsolver6v33100L6iota_nI19rocblas_complex_numIfEEEvPT_jS4_,"axG",@progbits,_ZN9rocsolver6v33100L6iota_nI19rocblas_complex_numIfEEEvPT_jS4_,comdat
.Lfunc_end18:
	.size	_ZN9rocsolver6v33100L6iota_nI19rocblas_complex_numIfEEEvPT_jS4_, .Lfunc_end18-_ZN9rocsolver6v33100L6iota_nI19rocblas_complex_numIfEEEvPT_jS4_
                                        ; -- End function
	.section	.AMDGPU.csdata,"",@progbits
; Kernel info:
; codeLenInByte = 76
; NumSgprs: 10
; NumVgprs: 5
; NumAgprs: 0
; TotalNumVgprs: 5
; ScratchSize: 0
; MemoryBound: 0
; FloatMode: 240
; IeeeMode: 1
; LDSByteSize: 0 bytes/workgroup (compile time only)
; SGPRBlocks: 1
; VGPRBlocks: 0
; NumSGPRsForWavesPerEU: 10
; NumVGPRsForWavesPerEU: 5
; AccumOffset: 8
; Occupancy: 8
; WaveLimiterHint : 0
; COMPUTE_PGM_RSRC2:SCRATCH_EN: 0
; COMPUTE_PGM_RSRC2:USER_SGPR: 6
; COMPUTE_PGM_RSRC2:TRAP_HANDLER: 0
; COMPUTE_PGM_RSRC2:TGID_X_EN: 1
; COMPUTE_PGM_RSRC2:TGID_Y_EN: 0
; COMPUTE_PGM_RSRC2:TGID_Z_EN: 0
; COMPUTE_PGM_RSRC2:TIDIG_COMP_CNT: 0
; COMPUTE_PGM_RSRC3_GFX90A:ACCUM_OFFSET: 1
; COMPUTE_PGM_RSRC3_GFX90A:TG_SPLIT: 0
	.section	.text._ZN9rocsolver6v33100L16reset_batch_infoI19rocblas_complex_numIfEiiPS3_EEvT2_lT0_T1_,"axG",@progbits,_ZN9rocsolver6v33100L16reset_batch_infoI19rocblas_complex_numIfEiiPS3_EEvT2_lT0_T1_,comdat
	.globl	_ZN9rocsolver6v33100L16reset_batch_infoI19rocblas_complex_numIfEiiPS3_EEvT2_lT0_T1_ ; -- Begin function _ZN9rocsolver6v33100L16reset_batch_infoI19rocblas_complex_numIfEiiPS3_EEvT2_lT0_T1_
	.p2align	8
	.type	_ZN9rocsolver6v33100L16reset_batch_infoI19rocblas_complex_numIfEiiPS3_EEvT2_lT0_T1_,@function
_ZN9rocsolver6v33100L16reset_batch_infoI19rocblas_complex_numIfEiiPS3_EEvT2_lT0_T1_: ; @_ZN9rocsolver6v33100L16reset_batch_infoI19rocblas_complex_numIfEiiPS3_EEvT2_lT0_T1_
; %bb.0:
	s_load_dword s2, s[4:5], 0x24
	s_load_dwordx2 s[0:1], s[4:5], 0x10
	s_waitcnt lgkmcnt(0)
	s_and_b32 s2, s2, 0xffff
	s_mul_i32 s6, s6, s2
	v_add_u32_e32 v0, s6, v0
	v_cmp_gt_i32_e32 vcc, s0, v0
	s_and_saveexec_b64 s[2:3], vcc
	s_cbranch_execz .LBB19_2
; %bb.1:
	s_load_dwordx4 s[8:11], s[4:5], 0x0
	s_ashr_i32 s0, s7, 31
	v_ashrrev_i32_e32 v1, 31, v0
	v_cvt_f32_i32_e32 v2, s1
	v_lshlrev_b64 v[0:1], 3, v[0:1]
	s_waitcnt lgkmcnt(0)
	s_mul_i32 s3, s7, s11
	s_mul_hi_u32 s4, s7, s10
	s_mul_i32 s0, s0, s10
	s_add_i32 s3, s4, s3
	s_mul_i32 s2, s7, s10
	s_add_i32 s3, s3, s0
	s_lshl_b64 s[2:3], s[2:3], 3
	s_add_u32 s0, s8, s2
	s_addc_u32 s2, s9, s3
	v_mov_b32_e32 v3, s2
	v_add_co_u32_e32 v0, vcc, s0, v0
	v_addc_co_u32_e32 v1, vcc, v3, v1, vcc
	v_mov_b32_e32 v3, 0
	global_store_dwordx2 v[0:1], v[2:3], off
.LBB19_2:
	s_endpgm
	.section	.rodata,"a",@progbits
	.p2align	6, 0x0
	.amdhsa_kernel _ZN9rocsolver6v33100L16reset_batch_infoI19rocblas_complex_numIfEiiPS3_EEvT2_lT0_T1_
		.amdhsa_group_segment_fixed_size 0
		.amdhsa_private_segment_fixed_size 0
		.amdhsa_kernarg_size 280
		.amdhsa_user_sgpr_count 6
		.amdhsa_user_sgpr_private_segment_buffer 1
		.amdhsa_user_sgpr_dispatch_ptr 0
		.amdhsa_user_sgpr_queue_ptr 0
		.amdhsa_user_sgpr_kernarg_segment_ptr 1
		.amdhsa_user_sgpr_dispatch_id 0
		.amdhsa_user_sgpr_flat_scratch_init 0
		.amdhsa_user_sgpr_kernarg_preload_length 0
		.amdhsa_user_sgpr_kernarg_preload_offset 0
		.amdhsa_user_sgpr_private_segment_size 0
		.amdhsa_uses_dynamic_stack 0
		.amdhsa_system_sgpr_private_segment_wavefront_offset 0
		.amdhsa_system_sgpr_workgroup_id_x 1
		.amdhsa_system_sgpr_workgroup_id_y 1
		.amdhsa_system_sgpr_workgroup_id_z 0
		.amdhsa_system_sgpr_workgroup_info 0
		.amdhsa_system_vgpr_workitem_id 0
		.amdhsa_next_free_vgpr 4
		.amdhsa_next_free_sgpr 12
		.amdhsa_accum_offset 4
		.amdhsa_reserve_vcc 1
		.amdhsa_reserve_flat_scratch 0
		.amdhsa_float_round_mode_32 0
		.amdhsa_float_round_mode_16_64 0
		.amdhsa_float_denorm_mode_32 3
		.amdhsa_float_denorm_mode_16_64 3
		.amdhsa_dx10_clamp 1
		.amdhsa_ieee_mode 1
		.amdhsa_fp16_overflow 0
		.amdhsa_tg_split 0
		.amdhsa_exception_fp_ieee_invalid_op 0
		.amdhsa_exception_fp_denorm_src 0
		.amdhsa_exception_fp_ieee_div_zero 0
		.amdhsa_exception_fp_ieee_overflow 0
		.amdhsa_exception_fp_ieee_underflow 0
		.amdhsa_exception_fp_ieee_inexact 0
		.amdhsa_exception_int_div_zero 0
	.end_amdhsa_kernel
	.section	.text._ZN9rocsolver6v33100L16reset_batch_infoI19rocblas_complex_numIfEiiPS3_EEvT2_lT0_T1_,"axG",@progbits,_ZN9rocsolver6v33100L16reset_batch_infoI19rocblas_complex_numIfEiiPS3_EEvT2_lT0_T1_,comdat
.Lfunc_end19:
	.size	_ZN9rocsolver6v33100L16reset_batch_infoI19rocblas_complex_numIfEiiPS3_EEvT2_lT0_T1_, .Lfunc_end19-_ZN9rocsolver6v33100L16reset_batch_infoI19rocblas_complex_numIfEiiPS3_EEvT2_lT0_T1_
                                        ; -- End function
	.section	.AMDGPU.csdata,"",@progbits
; Kernel info:
; codeLenInByte = 144
; NumSgprs: 16
; NumVgprs: 4
; NumAgprs: 0
; TotalNumVgprs: 4
; ScratchSize: 0
; MemoryBound: 0
; FloatMode: 240
; IeeeMode: 1
; LDSByteSize: 0 bytes/workgroup (compile time only)
; SGPRBlocks: 1
; VGPRBlocks: 0
; NumSGPRsForWavesPerEU: 16
; NumVGPRsForWavesPerEU: 4
; AccumOffset: 4
; Occupancy: 8
; WaveLimiterHint : 0
; COMPUTE_PGM_RSRC2:SCRATCH_EN: 0
; COMPUTE_PGM_RSRC2:USER_SGPR: 6
; COMPUTE_PGM_RSRC2:TRAP_HANDLER: 0
; COMPUTE_PGM_RSRC2:TGID_X_EN: 1
; COMPUTE_PGM_RSRC2:TGID_Y_EN: 1
; COMPUTE_PGM_RSRC2:TGID_Z_EN: 0
; COMPUTE_PGM_RSRC2:TIDIG_COMP_CNT: 0
; COMPUTE_PGM_RSRC3_GFX90A:ACCUM_OFFSET: 0
; COMPUTE_PGM_RSRC3_GFX90A:TG_SPLIT: 0
	.section	.text._ZN9rocsolver6v33100L8set_diagI19rocblas_complex_numIfEifPKPS3_TnNSt9enable_ifIXaa18rocblas_is_complexIT_Ent18rocblas_is_complexIT1_EEiE4typeELi0EEEvPS9_llT2_lT0_lSE_b,"axG",@progbits,_ZN9rocsolver6v33100L8set_diagI19rocblas_complex_numIfEifPKPS3_TnNSt9enable_ifIXaa18rocblas_is_complexIT_Ent18rocblas_is_complexIT1_EEiE4typeELi0EEEvPS9_llT2_lT0_lSE_b,comdat
	.globl	_ZN9rocsolver6v33100L8set_diagI19rocblas_complex_numIfEifPKPS3_TnNSt9enable_ifIXaa18rocblas_is_complexIT_Ent18rocblas_is_complexIT1_EEiE4typeELi0EEEvPS9_llT2_lT0_lSE_b ; -- Begin function _ZN9rocsolver6v33100L8set_diagI19rocblas_complex_numIfEifPKPS3_TnNSt9enable_ifIXaa18rocblas_is_complexIT_Ent18rocblas_is_complexIT1_EEiE4typeELi0EEEvPS9_llT2_lT0_lSE_b
	.p2align	8
	.type	_ZN9rocsolver6v33100L8set_diagI19rocblas_complex_numIfEifPKPS3_TnNSt9enable_ifIXaa18rocblas_is_complexIT_Ent18rocblas_is_complexIT1_EEiE4typeELi0EEEvPS9_llT2_lT0_lSE_b,@function
_ZN9rocsolver6v33100L8set_diagI19rocblas_complex_numIfEifPKPS3_TnNSt9enable_ifIXaa18rocblas_is_complexIT_Ent18rocblas_is_complexIT1_EEiE4typeELi0EEEvPS9_llT2_lT0_lSE_b: ; @_ZN9rocsolver6v33100L8set_diagI19rocblas_complex_numIfEifPKPS3_TnNSt9enable_ifIXaa18rocblas_is_complexIT_Ent18rocblas_is_complexIT1_EEiE4typeELi0EEEvPS9_llT2_lT0_lSE_b
; %bb.0:
	s_load_dword s2, s[4:5], 0x4c
	s_load_dwordx2 s[0:1], s[4:5], 0x38
	v_bfe_u32 v0, v0, 10, 10
	s_waitcnt lgkmcnt(0)
	s_lshr_b32 s2, s2, 16
	s_mul_i32 s7, s7, s2
	v_add_u32_e32 v0, s7, v0
	v_cmp_gt_i32_e32 vcc, s0, v0
	s_and_saveexec_b64 s[2:3], vcc
	s_cbranch_execz .LBB20_5
; %bb.1:
	s_load_dwordx8 s[8:15], s[4:5], 0x0
	s_bitcmp1_b32 s1, 0
	s_cselect_b64 s[0:1], -1, 0
	s_ashr_i32 s7, s6, 31
	s_lshl_b64 s[2:3], s[6:7], 3
	s_waitcnt lgkmcnt(0)
	s_add_u32 s2, s14, s2
	s_addc_u32 s3, s15, s3
	s_load_dwordx2 s[14:15], s[4:5], 0x20
	s_load_dwordx2 s[16:17], s[2:3], 0x0
	s_load_dword s18, s[4:5], 0x28
	s_waitcnt lgkmcnt(0)
	s_lshl_b64 s[2:3], s[14:15], 3
	s_add_u32 s4, s16, s2
	s_addc_u32 s5, s17, s3
	v_mad_u64_u32 v[2:3], s[2:3], v0, s18, v[0:1]
	v_ashrrev_i32_e32 v3, 31, v2
	v_lshlrev_b64 v[2:3], 3, v[2:3]
	v_mov_b32_e32 v1, s5
	v_add_co_u32_e32 v2, vcc, s4, v2
	v_addc_co_u32_e32 v3, vcc, v1, v3, vcc
	global_load_dword v4, v[2:3], off
	s_mul_i32 s3, s6, s13
	s_mul_hi_u32 s4, s6, s12
	s_mul_i32 s5, s7, s12
	s_add_i32 s3, s4, s3
	s_mul_i32 s2, s6, s12
	s_add_i32 s3, s3, s5
	s_lshl_b64 s[2:3], s[2:3], 2
	s_add_u32 s4, s8, s2
	s_addc_u32 s5, s9, s3
	s_lshl_b64 s[2:3], s[10:11], 2
	v_ashrrev_i32_e32 v1, 31, v0
	s_add_u32 s2, s4, s2
	v_lshlrev_b64 v[0:1], 2, v[0:1]
	s_addc_u32 s3, s5, s3
	s_and_b64 vcc, exec, s[0:1]
	v_mov_b32_e32 v5, s3
	v_add_co_u32_e64 v0, s[0:1], s2, v0
	v_addc_co_u32_e64 v1, s[0:1], v5, v1, s[0:1]
	s_waitcnt vmcnt(0)
	global_store_dword v[0:1], v4, off
	s_cbranch_vccnz .LBB20_3
; %bb.2:
	global_load_dword v5, v[2:3], off offset:4
	s_branch .LBB20_4
.LBB20_3:
	v_mov_b32_e32 v4, 1.0
	v_mov_b32_e32 v5, 0
.LBB20_4:
	s_waitcnt vmcnt(0)
	global_store_dwordx2 v[2:3], v[4:5], off
.LBB20_5:
	s_endpgm
	.section	.rodata,"a",@progbits
	.p2align	6, 0x0
	.amdhsa_kernel _ZN9rocsolver6v33100L8set_diagI19rocblas_complex_numIfEifPKPS3_TnNSt9enable_ifIXaa18rocblas_is_complexIT_Ent18rocblas_is_complexIT1_EEiE4typeELi0EEEvPS9_llT2_lT0_lSE_b
		.amdhsa_group_segment_fixed_size 0
		.amdhsa_private_segment_fixed_size 0
		.amdhsa_kernarg_size 320
		.amdhsa_user_sgpr_count 6
		.amdhsa_user_sgpr_private_segment_buffer 1
		.amdhsa_user_sgpr_dispatch_ptr 0
		.amdhsa_user_sgpr_queue_ptr 0
		.amdhsa_user_sgpr_kernarg_segment_ptr 1
		.amdhsa_user_sgpr_dispatch_id 0
		.amdhsa_user_sgpr_flat_scratch_init 0
		.amdhsa_user_sgpr_kernarg_preload_length 0
		.amdhsa_user_sgpr_kernarg_preload_offset 0
		.amdhsa_user_sgpr_private_segment_size 0
		.amdhsa_uses_dynamic_stack 0
		.amdhsa_system_sgpr_private_segment_wavefront_offset 0
		.amdhsa_system_sgpr_workgroup_id_x 1
		.amdhsa_system_sgpr_workgroup_id_y 1
		.amdhsa_system_sgpr_workgroup_id_z 0
		.amdhsa_system_sgpr_workgroup_info 0
		.amdhsa_system_vgpr_workitem_id 1
		.amdhsa_next_free_vgpr 6
		.amdhsa_next_free_sgpr 19
		.amdhsa_accum_offset 8
		.amdhsa_reserve_vcc 1
		.amdhsa_reserve_flat_scratch 0
		.amdhsa_float_round_mode_32 0
		.amdhsa_float_round_mode_16_64 0
		.amdhsa_float_denorm_mode_32 3
		.amdhsa_float_denorm_mode_16_64 3
		.amdhsa_dx10_clamp 1
		.amdhsa_ieee_mode 1
		.amdhsa_fp16_overflow 0
		.amdhsa_tg_split 0
		.amdhsa_exception_fp_ieee_invalid_op 0
		.amdhsa_exception_fp_denorm_src 0
		.amdhsa_exception_fp_ieee_div_zero 0
		.amdhsa_exception_fp_ieee_overflow 0
		.amdhsa_exception_fp_ieee_underflow 0
		.amdhsa_exception_fp_ieee_inexact 0
		.amdhsa_exception_int_div_zero 0
	.end_amdhsa_kernel
	.section	.text._ZN9rocsolver6v33100L8set_diagI19rocblas_complex_numIfEifPKPS3_TnNSt9enable_ifIXaa18rocblas_is_complexIT_Ent18rocblas_is_complexIT1_EEiE4typeELi0EEEvPS9_llT2_lT0_lSE_b,"axG",@progbits,_ZN9rocsolver6v33100L8set_diagI19rocblas_complex_numIfEifPKPS3_TnNSt9enable_ifIXaa18rocblas_is_complexIT_Ent18rocblas_is_complexIT1_EEiE4typeELi0EEEvPS9_llT2_lT0_lSE_b,comdat
.Lfunc_end20:
	.size	_ZN9rocsolver6v33100L8set_diagI19rocblas_complex_numIfEifPKPS3_TnNSt9enable_ifIXaa18rocblas_is_complexIT_Ent18rocblas_is_complexIT1_EEiE4typeELi0EEEvPS9_llT2_lT0_lSE_b, .Lfunc_end20-_ZN9rocsolver6v33100L8set_diagI19rocblas_complex_numIfEifPKPS3_TnNSt9enable_ifIXaa18rocblas_is_complexIT_Ent18rocblas_is_complexIT1_EEiE4typeELi0EEEvPS9_llT2_lT0_lSE_b
                                        ; -- End function
	.section	.AMDGPU.csdata,"",@progbits
; Kernel info:
; codeLenInByte = 304
; NumSgprs: 23
; NumVgprs: 6
; NumAgprs: 0
; TotalNumVgprs: 6
; ScratchSize: 0
; MemoryBound: 0
; FloatMode: 240
; IeeeMode: 1
; LDSByteSize: 0 bytes/workgroup (compile time only)
; SGPRBlocks: 2
; VGPRBlocks: 0
; NumSGPRsForWavesPerEU: 23
; NumVGPRsForWavesPerEU: 6
; AccumOffset: 8
; Occupancy: 8
; WaveLimiterHint : 1
; COMPUTE_PGM_RSRC2:SCRATCH_EN: 0
; COMPUTE_PGM_RSRC2:USER_SGPR: 6
; COMPUTE_PGM_RSRC2:TRAP_HANDLER: 0
; COMPUTE_PGM_RSRC2:TGID_X_EN: 1
; COMPUTE_PGM_RSRC2:TGID_Y_EN: 1
; COMPUTE_PGM_RSRC2:TGID_Z_EN: 0
; COMPUTE_PGM_RSRC2:TIDIG_COMP_CNT: 1
; COMPUTE_PGM_RSRC3_GFX90A:ACCUM_OFFSET: 1
; COMPUTE_PGM_RSRC3_GFX90A:TG_SPLIT: 0
	.section	.text._ZN9rocsolver6v33100L11set_taubetaI19rocblas_complex_numIfEifPKPS3_EEvPT_lS8_T2_llPT1_ll,"axG",@progbits,_ZN9rocsolver6v33100L11set_taubetaI19rocblas_complex_numIfEifPKPS3_EEvPT_lS8_T2_llPT1_ll,comdat
	.globl	_ZN9rocsolver6v33100L11set_taubetaI19rocblas_complex_numIfEifPKPS3_EEvPT_lS8_T2_llPT1_ll ; -- Begin function _ZN9rocsolver6v33100L11set_taubetaI19rocblas_complex_numIfEifPKPS3_EEvPT_lS8_T2_llPT1_ll
	.p2align	8
	.type	_ZN9rocsolver6v33100L11set_taubetaI19rocblas_complex_numIfEifPKPS3_EEvPT_lS8_T2_llPT1_ll,@function
_ZN9rocsolver6v33100L11set_taubetaI19rocblas_complex_numIfEifPKPS3_EEvPT_lS8_T2_llPT1_ll: ; @_ZN9rocsolver6v33100L11set_taubetaI19rocblas_complex_numIfEifPKPS3_EEvPT_lS8_T2_llPT1_ll
; %bb.0:
	s_load_dwordx8 s[8:15], s[4:5], 0x0
	s_load_dwordx2 s[20:21], s[4:5], 0x20
	s_load_dwordx4 s[0:3], s[4:5], 0x30
	s_ashr_i32 s7, s6, 31
	s_lshl_b64 s[18:19], s[6:7], 3
	s_waitcnt lgkmcnt(0)
	s_add_u32 s14, s14, s18
	s_addc_u32 s15, s15, s19
	s_load_dwordx2 s[22:23], s[14:15], 0x0
	s_mov_b64 s[16:17], 0
	s_cmp_eq_u64 s[0:1], 0
	s_mov_b64 s[14:15], 0
	s_cbranch_scc1 .LBB21_2
; %bb.1:
	s_load_dwordx2 s[4:5], s[4:5], 0x40
	s_waitcnt lgkmcnt(0)
	s_mul_i32 s5, s6, s5
	s_mul_hi_u32 s14, s6, s4
	s_mul_i32 s15, s7, s4
	s_add_i32 s5, s14, s5
	s_mul_i32 s4, s6, s4
	s_add_i32 s5, s5, s15
	s_lshl_b64 s[4:5], s[4:5], 2
	s_add_u32 s4, s0, s4
	s_addc_u32 s5, s1, s5
	s_lshl_b64 s[0:1], s[2:3], 2
	s_add_u32 s14, s4, s0
	s_addc_u32 s15, s5, s1
.LBB21_2:
	s_lshl_b64 s[0:1], s[20:21], 3
	s_waitcnt lgkmcnt(0)
	s_add_u32 s2, s22, s0
	s_addc_u32 s3, s23, s1
	s_mul_i32 s0, s6, s11
	s_mul_hi_u32 s1, s6, s10
	s_add_i32 s0, s1, s0
	s_mul_i32 s1, s7, s10
	s_add_i32 s1, s0, s1
	s_mul_i32 s0, s6, s10
	s_lshl_b64 s[0:1], s[0:1], 3
	s_add_u32 s4, s8, s0
	s_addc_u32 s5, s9, s1
	s_add_u32 s8, s12, s18
	s_addc_u32 s9, s13, s19
	s_load_dword s10, s[2:3], 0x4
	s_load_dword s11, s[8:9], 0x0
	s_cmp_lg_u64 s[14:15], 0
	s_cselect_b64 s[6:7], -1, 0
	s_mov_b64 s[0:1], -1
	s_waitcnt lgkmcnt(0)
	v_mul_f32_e64 v2, s10, s10
	v_max_f32_e64 v0, s11, s11
	v_max_f32_e32 v0, v0, v2
	v_cmp_nlt_f32_e32 vcc, 0, v0
	s_cbranch_vccz .LBB21_5
; %bb.3:
	v_mov_b32_e32 v1, 0
	v_mov_b32_e32 v0, 1.0
	v_mov_b32_e32 v4, v1
	v_mov_b32_e32 v5, v1
	s_mov_b64 s[0:1], 0
	s_and_b64 vcc, exec, s[6:7]
	global_store_dwordx2 v1, v[0:1], s[8:9]
	global_store_dwordx2 v1, v[4:5], s[4:5]
	s_cbranch_vccz .LBB21_5
; %bb.4:
	global_load_dword v3, v1, s[2:3]
	v_pk_mov_b32 v[4:5], s[14:15], s[14:15] op_sel:[0,1]
	s_mov_b64 s[16:17], -1
	s_waitcnt vmcnt(0)
	flat_store_dword v[4:5], v3
	global_store_dword v1, v0, s[2:3]
.LBB21_5:
	s_and_b64 vcc, exec, s[0:1]
	s_cbranch_vccnz .LBB21_8
; %bb.6:
	s_andn2_b64 vcc, exec, s[16:17]
	s_cbranch_vccz .LBB21_12
; %bb.7:
	s_endpgm
.LBB21_8:
	s_load_dword s12, s[2:3], 0x0
	s_mov_b32 s0, 0xf800000
	v_mov_b32_e32 v3, 0x260
	s_waitcnt lgkmcnt(0)
	v_fma_f32 v0, s12, s12, v2
	v_add_f32_e32 v0, s11, v0
	v_mul_f32_e32 v1, 0x4f800000, v0
	v_cmp_gt_f32_e32 vcc, s0, v0
	v_cndmask_b32_e32 v0, v0, v1, vcc
	v_sqrt_f32_e32 v1, v0
	v_add_u32_e32 v4, -1, v1
	v_add_u32_e32 v5, 1, v1
	v_fma_f32 v6, -v4, v1, v0
	v_fma_f32 v7, -v5, v1, v0
	v_cmp_ge_f32_e64 s[0:1], 0, v6
	v_cndmask_b32_e64 v1, v1, v4, s[0:1]
	v_cmp_lt_f32_e64 s[0:1], 0, v7
	v_cndmask_b32_e64 v1, v1, v5, s[0:1]
	v_mul_f32_e32 v4, 0x37800000, v1
	v_cndmask_b32_e32 v1, v1, v4, vcc
	v_cmp_class_f32_e32 vcc, v0, v3
	v_cndmask_b32_e32 v0, v1, v0, vcc
	v_cmp_ge_f32_e64 s[0:1], s12, 0
	v_cndmask_b32_e64 v0, v0, -v0, s[0:1]
	v_sub_f32_e32 v1, s12, v0
	v_fmac_f32_e32 v2, v1, v1
	v_div_scale_f32 v3, s[0:1], v2, v2, v1
	v_rcp_f32_e32 v4, v3
	v_fma_f32 v5, -v3, v4, 1.0
	v_fmac_f32_e32 v4, v5, v4
	v_div_scale_f32 v5, vcc, v1, v2, v1
	v_mul_f32_e32 v6, v5, v4
	v_fma_f32 v7, -v3, v6, v5
	v_fmac_f32_e32 v6, v7, v4
	v_fma_f32 v3, -v3, v6, v5
	v_div_scale_f32 v5, s[0:1], v2, v2, -s10
	v_rcp_f32_e32 v7, v5
	v_div_fmas_f32 v3, v3, v4, v6
	v_div_fixup_f32 v4, v3, v2, v1
	v_fma_f32 v1, -v5, v7, 1.0
	v_fmac_f32_e32 v7, v1, v7
	v_div_scale_f32 v1, vcc, -s10, v2, -s10
	v_mul_f32_e32 v3, v1, v7
	v_fma_f32 v6, -v5, v3, v1
	v_fmac_f32_e32 v3, v6, v7
	v_fma_f32 v1, -v5, v3, v1
	v_div_fmas_f32 v1, v1, v7, v3
	v_subrev_f32_e32 v3, s12, v0
	v_div_scale_f32 v6, s[0:1], v0, v0, v3
	v_rcp_f32_e32 v7, v6
	v_div_fixup_f32 v5, v1, v2, -s10
	v_mov_b32_e32 v1, 0
	global_store_dwordx2 v1, v[4:5], s[8:9]
	v_fma_f32 v2, -v6, v7, 1.0
	v_fmac_f32_e32 v7, v2, v7
	v_div_scale_f32 v2, vcc, v3, v0, v3
	v_mul_f32_e32 v4, v2, v7
	v_fma_f32 v5, -v6, v4, v2
	v_fmac_f32_e32 v4, v5, v7
	v_div_scale_f32 v5, s[0:1], v0, v0, -s10
	v_fma_f32 v2, -v6, v4, v2
	v_rcp_f32_e32 v6, v5
	v_div_fmas_f32 v2, v2, v7, v4
	v_div_fixup_f32 v2, v2, v0, v3
	v_fma_f32 v3, -v5, v6, 1.0
	v_fmac_f32_e32 v6, v3, v6
	v_div_scale_f32 v3, vcc, -s10, v0, -s10
	v_mul_f32_e32 v4, v3, v6
	v_fma_f32 v7, -v5, v4, v3
	v_fmac_f32_e32 v4, v7, v6
	v_fma_f32 v3, -v5, v4, v3
	v_div_fmas_f32 v3, v3, v6, v4
	v_div_fixup_f32 v3, v3, v0, -s10
	s_and_b64 vcc, exec, s[6:7]
	global_store_dwordx2 v1, v[2:3], s[4:5]
	s_cbranch_vccz .LBB21_13
; %bb.9:
	v_pk_mov_b32 v[2:3], s[14:15], s[14:15] op_sel:[0,1]
	flat_store_dword v[2:3], v0
	v_mov_b32_e32 v2, 1.0
	s_waitcnt lgkmcnt(0)
	global_store_dword v1, v2, s[2:3]
	s_cbranch_execnz .LBB21_11
.LBB21_10:
	v_mov_b32_e32 v1, 0
	global_store_dword v1, v0, s[2:3]
.LBB21_11:
.LBB21_12:
	v_mov_b32_e32 v0, 0
	global_store_dword v0, v0, s[2:3] offset:4
	s_endpgm
.LBB21_13:
	s_branch .LBB21_10
	.section	.rodata,"a",@progbits
	.p2align	6, 0x0
	.amdhsa_kernel _ZN9rocsolver6v33100L11set_taubetaI19rocblas_complex_numIfEifPKPS3_EEvPT_lS8_T2_llPT1_ll
		.amdhsa_group_segment_fixed_size 0
		.amdhsa_private_segment_fixed_size 0
		.amdhsa_kernarg_size 72
		.amdhsa_user_sgpr_count 6
		.amdhsa_user_sgpr_private_segment_buffer 1
		.amdhsa_user_sgpr_dispatch_ptr 0
		.amdhsa_user_sgpr_queue_ptr 0
		.amdhsa_user_sgpr_kernarg_segment_ptr 1
		.amdhsa_user_sgpr_dispatch_id 0
		.amdhsa_user_sgpr_flat_scratch_init 0
		.amdhsa_user_sgpr_kernarg_preload_length 0
		.amdhsa_user_sgpr_kernarg_preload_offset 0
		.amdhsa_user_sgpr_private_segment_size 0
		.amdhsa_uses_dynamic_stack 0
		.amdhsa_system_sgpr_private_segment_wavefront_offset 0
		.amdhsa_system_sgpr_workgroup_id_x 1
		.amdhsa_system_sgpr_workgroup_id_y 0
		.amdhsa_system_sgpr_workgroup_id_z 0
		.amdhsa_system_sgpr_workgroup_info 0
		.amdhsa_system_vgpr_workitem_id 0
		.amdhsa_next_free_vgpr 8
		.amdhsa_next_free_sgpr 24
		.amdhsa_accum_offset 8
		.amdhsa_reserve_vcc 1
		.amdhsa_reserve_flat_scratch 0
		.amdhsa_float_round_mode_32 0
		.amdhsa_float_round_mode_16_64 0
		.amdhsa_float_denorm_mode_32 3
		.amdhsa_float_denorm_mode_16_64 3
		.amdhsa_dx10_clamp 1
		.amdhsa_ieee_mode 1
		.amdhsa_fp16_overflow 0
		.amdhsa_tg_split 0
		.amdhsa_exception_fp_ieee_invalid_op 0
		.amdhsa_exception_fp_denorm_src 0
		.amdhsa_exception_fp_ieee_div_zero 0
		.amdhsa_exception_fp_ieee_overflow 0
		.amdhsa_exception_fp_ieee_underflow 0
		.amdhsa_exception_fp_ieee_inexact 0
		.amdhsa_exception_int_div_zero 0
	.end_amdhsa_kernel
	.section	.text._ZN9rocsolver6v33100L11set_taubetaI19rocblas_complex_numIfEifPKPS3_EEvPT_lS8_T2_llPT1_ll,"axG",@progbits,_ZN9rocsolver6v33100L11set_taubetaI19rocblas_complex_numIfEifPKPS3_EEvPT_lS8_T2_llPT1_ll,comdat
.Lfunc_end21:
	.size	_ZN9rocsolver6v33100L11set_taubetaI19rocblas_complex_numIfEifPKPS3_EEvPT_lS8_T2_llPT1_ll, .Lfunc_end21-_ZN9rocsolver6v33100L11set_taubetaI19rocblas_complex_numIfEifPKPS3_EEvPT_lS8_T2_llPT1_ll
                                        ; -- End function
	.section	.AMDGPU.csdata,"",@progbits
; Kernel info:
; codeLenInByte = 900
; NumSgprs: 28
; NumVgprs: 8
; NumAgprs: 0
; TotalNumVgprs: 8
; ScratchSize: 0
; MemoryBound: 0
; FloatMode: 240
; IeeeMode: 1
; LDSByteSize: 0 bytes/workgroup (compile time only)
; SGPRBlocks: 3
; VGPRBlocks: 0
; NumSGPRsForWavesPerEU: 28
; NumVGPRsForWavesPerEU: 8
; AccumOffset: 8
; Occupancy: 8
; WaveLimiterHint : 1
; COMPUTE_PGM_RSRC2:SCRATCH_EN: 0
; COMPUTE_PGM_RSRC2:USER_SGPR: 6
; COMPUTE_PGM_RSRC2:TRAP_HANDLER: 0
; COMPUTE_PGM_RSRC2:TGID_X_EN: 1
; COMPUTE_PGM_RSRC2:TGID_Y_EN: 0
; COMPUTE_PGM_RSRC2:TGID_Z_EN: 0
; COMPUTE_PGM_RSRC2:TIDIG_COMP_CNT: 0
; COMPUTE_PGM_RSRC3_GFX90A:ACCUM_OFFSET: 1
; COMPUTE_PGM_RSRC3_GFX90A:TG_SPLIT: 0
	.section	.text._ZN9rocsolver6v33100L8set_diagI19rocblas_complex_numIfEiS3_PKPS3_TnNSt9enable_ifIXoont18rocblas_is_complexIT_E18rocblas_is_complexIT1_EEiE4typeELi0EEEvPS9_llT2_lT0_lSE_b,"axG",@progbits,_ZN9rocsolver6v33100L8set_diagI19rocblas_complex_numIfEiS3_PKPS3_TnNSt9enable_ifIXoont18rocblas_is_complexIT_E18rocblas_is_complexIT1_EEiE4typeELi0EEEvPS9_llT2_lT0_lSE_b,comdat
	.globl	_ZN9rocsolver6v33100L8set_diagI19rocblas_complex_numIfEiS3_PKPS3_TnNSt9enable_ifIXoont18rocblas_is_complexIT_E18rocblas_is_complexIT1_EEiE4typeELi0EEEvPS9_llT2_lT0_lSE_b ; -- Begin function _ZN9rocsolver6v33100L8set_diagI19rocblas_complex_numIfEiS3_PKPS3_TnNSt9enable_ifIXoont18rocblas_is_complexIT_E18rocblas_is_complexIT1_EEiE4typeELi0EEEvPS9_llT2_lT0_lSE_b
	.p2align	8
	.type	_ZN9rocsolver6v33100L8set_diagI19rocblas_complex_numIfEiS3_PKPS3_TnNSt9enable_ifIXoont18rocblas_is_complexIT_E18rocblas_is_complexIT1_EEiE4typeELi0EEEvPS9_llT2_lT0_lSE_b,@function
_ZN9rocsolver6v33100L8set_diagI19rocblas_complex_numIfEiS3_PKPS3_TnNSt9enable_ifIXoont18rocblas_is_complexIT_E18rocblas_is_complexIT1_EEiE4typeELi0EEEvPS9_llT2_lT0_lSE_b: ; @_ZN9rocsolver6v33100L8set_diagI19rocblas_complex_numIfEiS3_PKPS3_TnNSt9enable_ifIXoont18rocblas_is_complexIT_E18rocblas_is_complexIT1_EEiE4typeELi0EEEvPS9_llT2_lT0_lSE_b
; %bb.0:
	s_load_dword s2, s[4:5], 0x4c
	s_load_dwordx2 s[0:1], s[4:5], 0x38
	v_bfe_u32 v0, v0, 10, 10
	s_waitcnt lgkmcnt(0)
	s_lshr_b32 s2, s2, 16
	s_mul_i32 s7, s7, s2
	v_add_u32_e32 v0, s7, v0
	v_cmp_gt_i32_e32 vcc, s0, v0
	s_and_saveexec_b64 s[2:3], vcc
	s_cbranch_execz .LBB22_5
; %bb.1:
	s_load_dwordx8 s[8:15], s[4:5], 0x0
	s_bitcmp1_b32 s1, 0
	s_cselect_b64 s[0:1], -1, 0
	s_ashr_i32 s7, s6, 31
	s_lshl_b64 s[2:3], s[6:7], 3
	s_waitcnt lgkmcnt(0)
	s_add_u32 s2, s14, s2
	s_addc_u32 s3, s15, s3
	s_load_dwordx2 s[14:15], s[4:5], 0x20
	s_load_dwordx2 s[16:17], s[2:3], 0x0
	s_load_dword s18, s[4:5], 0x28
	s_waitcnt lgkmcnt(0)
	s_lshl_b64 s[2:3], s[14:15], 3
	s_add_u32 s4, s16, s2
	s_addc_u32 s5, s17, s3
	v_mad_u64_u32 v[2:3], s[2:3], v0, s18, v[0:1]
	v_ashrrev_i32_e32 v3, 31, v2
	v_lshlrev_b64 v[2:3], 3, v[2:3]
	v_mov_b32_e32 v1, s5
	v_add_co_u32_e32 v2, vcc, s4, v2
	v_addc_co_u32_e32 v3, vcc, v1, v3, vcc
	global_load_dwordx2 v[4:5], v[2:3], off
	s_mul_i32 s3, s6, s13
	s_mul_hi_u32 s4, s6, s12
	s_mul_i32 s5, s7, s12
	s_add_i32 s3, s4, s3
	s_mul_i32 s2, s6, s12
	s_add_i32 s3, s3, s5
	s_lshl_b64 s[2:3], s[2:3], 3
	s_add_u32 s4, s8, s2
	s_addc_u32 s5, s9, s3
	s_lshl_b64 s[2:3], s[10:11], 3
	v_ashrrev_i32_e32 v1, 31, v0
	s_add_u32 s2, s4, s2
	v_lshlrev_b64 v[0:1], 3, v[0:1]
	s_addc_u32 s3, s5, s3
	s_and_b64 vcc, exec, s[0:1]
	v_mov_b32_e32 v6, s3
	v_add_co_u32_e64 v0, s[0:1], s2, v0
	v_addc_co_u32_e64 v1, s[0:1], v6, v1, s[0:1]
	s_waitcnt vmcnt(0)
	global_store_dwordx2 v[0:1], v[4:5], off
	s_cbranch_vccnz .LBB22_3
; %bb.2:
	global_load_dwordx2 v[0:1], v[2:3], off
	s_branch .LBB22_4
.LBB22_3:
	v_mov_b32_e32 v0, 1.0
	v_mov_b32_e32 v1, 0
.LBB22_4:
	s_waitcnt vmcnt(0)
	global_store_dwordx2 v[2:3], v[0:1], off
.LBB22_5:
	s_endpgm
	.section	.rodata,"a",@progbits
	.p2align	6, 0x0
	.amdhsa_kernel _ZN9rocsolver6v33100L8set_diagI19rocblas_complex_numIfEiS3_PKPS3_TnNSt9enable_ifIXoont18rocblas_is_complexIT_E18rocblas_is_complexIT1_EEiE4typeELi0EEEvPS9_llT2_lT0_lSE_b
		.amdhsa_group_segment_fixed_size 0
		.amdhsa_private_segment_fixed_size 0
		.amdhsa_kernarg_size 320
		.amdhsa_user_sgpr_count 6
		.amdhsa_user_sgpr_private_segment_buffer 1
		.amdhsa_user_sgpr_dispatch_ptr 0
		.amdhsa_user_sgpr_queue_ptr 0
		.amdhsa_user_sgpr_kernarg_segment_ptr 1
		.amdhsa_user_sgpr_dispatch_id 0
		.amdhsa_user_sgpr_flat_scratch_init 0
		.amdhsa_user_sgpr_kernarg_preload_length 0
		.amdhsa_user_sgpr_kernarg_preload_offset 0
		.amdhsa_user_sgpr_private_segment_size 0
		.amdhsa_uses_dynamic_stack 0
		.amdhsa_system_sgpr_private_segment_wavefront_offset 0
		.amdhsa_system_sgpr_workgroup_id_x 1
		.amdhsa_system_sgpr_workgroup_id_y 1
		.amdhsa_system_sgpr_workgroup_id_z 0
		.amdhsa_system_sgpr_workgroup_info 0
		.amdhsa_system_vgpr_workitem_id 1
		.amdhsa_next_free_vgpr 7
		.amdhsa_next_free_sgpr 19
		.amdhsa_accum_offset 8
		.amdhsa_reserve_vcc 1
		.amdhsa_reserve_flat_scratch 0
		.amdhsa_float_round_mode_32 0
		.amdhsa_float_round_mode_16_64 0
		.amdhsa_float_denorm_mode_32 3
		.amdhsa_float_denorm_mode_16_64 3
		.amdhsa_dx10_clamp 1
		.amdhsa_ieee_mode 1
		.amdhsa_fp16_overflow 0
		.amdhsa_tg_split 0
		.amdhsa_exception_fp_ieee_invalid_op 0
		.amdhsa_exception_fp_denorm_src 0
		.amdhsa_exception_fp_ieee_div_zero 0
		.amdhsa_exception_fp_ieee_overflow 0
		.amdhsa_exception_fp_ieee_underflow 0
		.amdhsa_exception_fp_ieee_inexact 0
		.amdhsa_exception_int_div_zero 0
	.end_amdhsa_kernel
	.section	.text._ZN9rocsolver6v33100L8set_diagI19rocblas_complex_numIfEiS3_PKPS3_TnNSt9enable_ifIXoont18rocblas_is_complexIT_E18rocblas_is_complexIT1_EEiE4typeELi0EEEvPS9_llT2_lT0_lSE_b,"axG",@progbits,_ZN9rocsolver6v33100L8set_diagI19rocblas_complex_numIfEiS3_PKPS3_TnNSt9enable_ifIXoont18rocblas_is_complexIT_E18rocblas_is_complexIT1_EEiE4typeELi0EEEvPS9_llT2_lT0_lSE_b,comdat
.Lfunc_end22:
	.size	_ZN9rocsolver6v33100L8set_diagI19rocblas_complex_numIfEiS3_PKPS3_TnNSt9enable_ifIXoont18rocblas_is_complexIT_E18rocblas_is_complexIT1_EEiE4typeELi0EEEvPS9_llT2_lT0_lSE_b, .Lfunc_end22-_ZN9rocsolver6v33100L8set_diagI19rocblas_complex_numIfEiS3_PKPS3_TnNSt9enable_ifIXoont18rocblas_is_complexIT_E18rocblas_is_complexIT1_EEiE4typeELi0EEEvPS9_llT2_lT0_lSE_b
                                        ; -- End function
	.section	.AMDGPU.csdata,"",@progbits
; Kernel info:
; codeLenInByte = 304
; NumSgprs: 23
; NumVgprs: 7
; NumAgprs: 0
; TotalNumVgprs: 7
; ScratchSize: 0
; MemoryBound: 0
; FloatMode: 240
; IeeeMode: 1
; LDSByteSize: 0 bytes/workgroup (compile time only)
; SGPRBlocks: 2
; VGPRBlocks: 0
; NumSGPRsForWavesPerEU: 23
; NumVGPRsForWavesPerEU: 7
; AccumOffset: 8
; Occupancy: 8
; WaveLimiterHint : 1
; COMPUTE_PGM_RSRC2:SCRATCH_EN: 0
; COMPUTE_PGM_RSRC2:USER_SGPR: 6
; COMPUTE_PGM_RSRC2:TRAP_HANDLER: 0
; COMPUTE_PGM_RSRC2:TGID_X_EN: 1
; COMPUTE_PGM_RSRC2:TGID_Y_EN: 1
; COMPUTE_PGM_RSRC2:TGID_Z_EN: 0
; COMPUTE_PGM_RSRC2:TIDIG_COMP_CNT: 1
; COMPUTE_PGM_RSRC3_GFX90A:ACCUM_OFFSET: 1
; COMPUTE_PGM_RSRC3_GFX90A:TG_SPLIT: 0
	.section	.text._ZN9rocsolver6v33100L13conj_in_placeI19rocblas_complex_numIfEiPS3_TnNSt9enable_ifIX18rocblas_is_complexIT_EEiE4typeELi0EEEvT0_S9_T1_lS9_l,"axG",@progbits,_ZN9rocsolver6v33100L13conj_in_placeI19rocblas_complex_numIfEiPS3_TnNSt9enable_ifIX18rocblas_is_complexIT_EEiE4typeELi0EEEvT0_S9_T1_lS9_l,comdat
	.globl	_ZN9rocsolver6v33100L13conj_in_placeI19rocblas_complex_numIfEiPS3_TnNSt9enable_ifIX18rocblas_is_complexIT_EEiE4typeELi0EEEvT0_S9_T1_lS9_l ; -- Begin function _ZN9rocsolver6v33100L13conj_in_placeI19rocblas_complex_numIfEiPS3_TnNSt9enable_ifIX18rocblas_is_complexIT_EEiE4typeELi0EEEvT0_S9_T1_lS9_l
	.p2align	8
	.type	_ZN9rocsolver6v33100L13conj_in_placeI19rocblas_complex_numIfEiPS3_TnNSt9enable_ifIX18rocblas_is_complexIT_EEiE4typeELi0EEEvT0_S9_T1_lS9_l,@function
_ZN9rocsolver6v33100L13conj_in_placeI19rocblas_complex_numIfEiPS3_TnNSt9enable_ifIX18rocblas_is_complexIT_EEiE4typeELi0EEEvT0_S9_T1_lS9_l: ; @_ZN9rocsolver6v33100L13conj_in_placeI19rocblas_complex_numIfEiPS3_TnNSt9enable_ifIX18rocblas_is_complexIT_EEiE4typeELi0EEEvT0_S9_T1_lS9_l
; %bb.0:
	s_load_dword s2, s[4:5], 0x34
	s_load_dwordx2 s[0:1], s[4:5], 0x0
	v_and_b32_e32 v1, 0x3ff, v0
	v_bfe_u32 v0, v0, 10, 10
	s_waitcnt lgkmcnt(0)
	s_lshr_b32 s3, s2, 16
	s_and_b32 s2, s2, 0xffff
	s_mul_i32 s6, s6, s2
	s_mul_i32 s7, s7, s3
	v_add_u32_e32 v2, s6, v1
	v_add_u32_e32 v0, s7, v0
	v_cmp_gt_i32_e32 vcc, s0, v2
	v_cmp_gt_i32_e64 s[0:1], s1, v0
	s_and_b64 s[0:1], vcc, s[0:1]
	s_and_saveexec_b64 s[2:3], s[0:1]
	s_cbranch_execz .LBB23_2
; %bb.1:
	s_load_dwordx2 s[6:7], s[4:5], 0x20
	s_load_dwordx4 s[0:3], s[4:5], 0x8
	s_load_dword s9, s[4:5], 0x18
	s_ashr_i32 s4, s8, 31
	v_ashrrev_i32_e32 v3, 31, v2
	s_waitcnt lgkmcnt(0)
	s_mul_i32 s5, s8, s7
	s_mul_hi_u32 s7, s8, s6
	s_add_i32 s5, s7, s5
	s_mul_i32 s4, s4, s6
	s_add_i32 s5, s5, s4
	s_mul_i32 s4, s8, s6
	s_lshl_b64 s[4:5], s[4:5], 3
	s_add_u32 s4, s0, s4
	s_addc_u32 s5, s1, s5
	s_lshl_b64 s[0:1], s[2:3], 3
	s_add_u32 s2, s4, s0
	s_addc_u32 s3, s5, s1
	v_mad_i64_i32 v[0:1], s[0:1], v0, s9, 0
	v_lshlrev_b64 v[4:5], 3, v[0:1]
	v_mov_b32_e32 v1, s3
	v_add_co_u32_e32 v6, vcc, s2, v4
	v_addc_co_u32_e32 v1, vcc, v1, v5, vcc
	v_lshlrev_b64 v[4:5], 3, v[2:3]
	v_add_co_u32_e32 v4, vcc, v6, v4
	v_addc_co_u32_e32 v5, vcc, v1, v5, vcc
	global_load_dwordx2 v[4:5], v[4:5], off
	v_add_u32_e32 v0, v0, v2
	v_ashrrev_i32_e32 v1, 31, v0
	v_lshlrev_b64 v[0:1], 3, v[0:1]
	v_mov_b32_e32 v2, s3
	v_add_co_u32_e32 v0, vcc, s2, v0
	v_addc_co_u32_e32 v1, vcc, v2, v1, vcc
	s_waitcnt vmcnt(0)
	v_xor_b32_e32 v5, 0x80000000, v5
	global_store_dwordx2 v[0:1], v[4:5], off
.LBB23_2:
	s_endpgm
	.section	.rodata,"a",@progbits
	.p2align	6, 0x0
	.amdhsa_kernel _ZN9rocsolver6v33100L13conj_in_placeI19rocblas_complex_numIfEiPS3_TnNSt9enable_ifIX18rocblas_is_complexIT_EEiE4typeELi0EEEvT0_S9_T1_lS9_l
		.amdhsa_group_segment_fixed_size 0
		.amdhsa_private_segment_fixed_size 0
		.amdhsa_kernarg_size 296
		.amdhsa_user_sgpr_count 6
		.amdhsa_user_sgpr_private_segment_buffer 1
		.amdhsa_user_sgpr_dispatch_ptr 0
		.amdhsa_user_sgpr_queue_ptr 0
		.amdhsa_user_sgpr_kernarg_segment_ptr 1
		.amdhsa_user_sgpr_dispatch_id 0
		.amdhsa_user_sgpr_flat_scratch_init 0
		.amdhsa_user_sgpr_kernarg_preload_length 0
		.amdhsa_user_sgpr_kernarg_preload_offset 0
		.amdhsa_user_sgpr_private_segment_size 0
		.amdhsa_uses_dynamic_stack 0
		.amdhsa_system_sgpr_private_segment_wavefront_offset 0
		.amdhsa_system_sgpr_workgroup_id_x 1
		.amdhsa_system_sgpr_workgroup_id_y 1
		.amdhsa_system_sgpr_workgroup_id_z 1
		.amdhsa_system_sgpr_workgroup_info 0
		.amdhsa_system_vgpr_workitem_id 1
		.amdhsa_next_free_vgpr 7
		.amdhsa_next_free_sgpr 10
		.amdhsa_accum_offset 8
		.amdhsa_reserve_vcc 1
		.amdhsa_reserve_flat_scratch 0
		.amdhsa_float_round_mode_32 0
		.amdhsa_float_round_mode_16_64 0
		.amdhsa_float_denorm_mode_32 3
		.amdhsa_float_denorm_mode_16_64 3
		.amdhsa_dx10_clamp 1
		.amdhsa_ieee_mode 1
		.amdhsa_fp16_overflow 0
		.amdhsa_tg_split 0
		.amdhsa_exception_fp_ieee_invalid_op 0
		.amdhsa_exception_fp_denorm_src 0
		.amdhsa_exception_fp_ieee_div_zero 0
		.amdhsa_exception_fp_ieee_overflow 0
		.amdhsa_exception_fp_ieee_underflow 0
		.amdhsa_exception_fp_ieee_inexact 0
		.amdhsa_exception_int_div_zero 0
	.end_amdhsa_kernel
	.section	.text._ZN9rocsolver6v33100L13conj_in_placeI19rocblas_complex_numIfEiPS3_TnNSt9enable_ifIX18rocblas_is_complexIT_EEiE4typeELi0EEEvT0_S9_T1_lS9_l,"axG",@progbits,_ZN9rocsolver6v33100L13conj_in_placeI19rocblas_complex_numIfEiPS3_TnNSt9enable_ifIX18rocblas_is_complexIT_EEiE4typeELi0EEEvT0_S9_T1_lS9_l,comdat
.Lfunc_end23:
	.size	_ZN9rocsolver6v33100L13conj_in_placeI19rocblas_complex_numIfEiPS3_TnNSt9enable_ifIX18rocblas_is_complexIT_EEiE4typeELi0EEEvT0_S9_T1_lS9_l, .Lfunc_end23-_ZN9rocsolver6v33100L13conj_in_placeI19rocblas_complex_numIfEiPS3_TnNSt9enable_ifIX18rocblas_is_complexIT_EEiE4typeELi0EEEvT0_S9_T1_lS9_l
                                        ; -- End function
	.section	.AMDGPU.csdata,"",@progbits
; Kernel info:
; codeLenInByte = 276
; NumSgprs: 14
; NumVgprs: 7
; NumAgprs: 0
; TotalNumVgprs: 7
; ScratchSize: 0
; MemoryBound: 0
; FloatMode: 240
; IeeeMode: 1
; LDSByteSize: 0 bytes/workgroup (compile time only)
; SGPRBlocks: 1
; VGPRBlocks: 0
; NumSGPRsForWavesPerEU: 14
; NumVGPRsForWavesPerEU: 7
; AccumOffset: 8
; Occupancy: 8
; WaveLimiterHint : 0
; COMPUTE_PGM_RSRC2:SCRATCH_EN: 0
; COMPUTE_PGM_RSRC2:USER_SGPR: 6
; COMPUTE_PGM_RSRC2:TRAP_HANDLER: 0
; COMPUTE_PGM_RSRC2:TGID_X_EN: 1
; COMPUTE_PGM_RSRC2:TGID_Y_EN: 1
; COMPUTE_PGM_RSRC2:TGID_Z_EN: 1
; COMPUTE_PGM_RSRC2:TIDIG_COMP_CNT: 1
; COMPUTE_PGM_RSRC3_GFX90A:ACCUM_OFFSET: 1
; COMPUTE_PGM_RSRC3_GFX90A:TG_SPLIT: 0
	.section	.text._ZN9rocsolver6v33100L16larf_left_kernelILi1024E19rocblas_complex_numIfEiPKPS3_EEvT1_S7_T2_lS7_lPKT0_lS8_lS7_l,"axG",@progbits,_ZN9rocsolver6v33100L16larf_left_kernelILi1024E19rocblas_complex_numIfEiPKPS3_EEvT1_S7_T2_lS7_lPKT0_lS8_lS7_l,comdat
	.globl	_ZN9rocsolver6v33100L16larf_left_kernelILi1024E19rocblas_complex_numIfEiPKPS3_EEvT1_S7_T2_lS7_lPKT0_lS8_lS7_l ; -- Begin function _ZN9rocsolver6v33100L16larf_left_kernelILi1024E19rocblas_complex_numIfEiPKPS3_EEvT1_S7_T2_lS7_lPKT0_lS8_lS7_l
	.p2align	8
	.type	_ZN9rocsolver6v33100L16larf_left_kernelILi1024E19rocblas_complex_numIfEiPKPS3_EEvT1_S7_T2_lS7_lPKT0_lS8_lS7_l,@function
_ZN9rocsolver6v33100L16larf_left_kernelILi1024E19rocblas_complex_numIfEiPKPS3_EEvT1_S7_T2_lS7_lPKT0_lS8_lS7_l: ; @_ZN9rocsolver6v33100L16larf_left_kernelILi1024E19rocblas_complex_numIfEiPKPS3_EEvT1_S7_T2_lS7_lPKT0_lS8_lS7_l
; %bb.0:
	s_load_dwordx8 s[12:19], s[4:5], 0x28
	s_load_dword s22, s[4:5], 0x0
	s_load_dword s6, s[4:5], 0x48
	s_ashr_i32 s9, s8, 31
	s_lshl_b64 s[20:21], s[8:9], 3
	s_waitcnt lgkmcnt(0)
	s_add_u32 s0, s16, s20
	s_addc_u32 s1, s17, s21
	s_load_dwordx2 s[2:3], s[0:1], 0x0
	v_mov_b32_e32 v5, 0
	s_mul_hi_i32 s11, s6, s7
	s_mul_i32 s10, s6, s7
	v_cmp_gt_i32_e64 s[0:1], s22, v0
	v_mov_b32_e32 v4, v5
	s_and_saveexec_b64 s[6:7], s[0:1]
	s_cbranch_execz .LBB24_6
; %bb.1:
	s_load_dword s16, s[4:5], 0x18
	s_load_dwordx4 s[24:27], s[4:5], 0x8
	s_sub_i32 s4, 1, s22
	v_lshl_add_u32 v1, v0, 3, 0
	v_add_u32_e32 v1, 0x80, v1
	s_waitcnt lgkmcnt(0)
	s_ashr_i32 s17, s16, 31
	s_mul_i32 s23, s4, s16
	v_cmp_lt_i64_e64 s[4:5], s[16:17], 1
	s_and_b64 s[4:5], s[4:5], exec
	s_cselect_b32 s4, s23, 0
	s_ashr_i32 s5, s4, 31
	s_add_u32 s20, s24, s20
	s_addc_u32 s21, s25, s21
	s_load_dwordx2 s[20:21], s[20:21], 0x0
	v_mad_i64_i32 v[2:3], s[24:25], s16, v0, 0
	s_lshl_b64 s[24:25], s[26:27], 3
	s_lshl_b64 s[4:5], s[4:5], 3
	s_waitcnt lgkmcnt(0)
	s_add_u32 s4, s20, s4
	s_addc_u32 s5, s21, s5
	s_add_u32 s4, s4, s24
	v_lshlrev_b64 v[2:3], 3, v[2:3]
	s_addc_u32 s5, s5, s25
	v_mov_b32_e32 v4, s5
	v_add_co_u32_e32 v2, vcc, s4, v2
	s_lshl_b64 s[16:17], s[16:17], 13
	v_addc_co_u32_e32 v3, vcc, v4, v3, vcc
	s_mov_b64 s[4:5], 0
	v_mov_b32_e32 v4, s17
	v_mov_b32_e32 v5, v1
	;; [unrolled: 1-line block ×3, first 2 shown]
.LBB24_2:                               ; =>This Inner Loop Header: Depth=1
	global_load_dwordx2 v[8:9], v[2:3], off
	v_add_co_u32_e32 v2, vcc, s16, v2
	v_add_u32_e32 v6, 0x400, v6
	v_addc_co_u32_e32 v3, vcc, v3, v4, vcc
	v_cmp_le_i32_e32 vcc, s22, v6
	s_or_b64 s[4:5], vcc, s[4:5]
	s_waitcnt vmcnt(0)
	ds_write_b64 v5, v[8:9]
	v_add_u32_e32 v5, 0x2000, v5
	s_andn2_b64 exec, exec, s[4:5]
	s_cbranch_execnz .LBB24_2
; %bb.3:
	s_or_b64 exec, exec, s[4:5]
	s_lshl_b64 s[4:5], s[10:11], 3
	s_lshl_b64 s[16:17], s[18:19], 3
	s_add_u32 s4, s4, s16
	s_addc_u32 s5, s5, s17
	s_add_u32 s4, s2, s4
	v_lshlrev_b32_e32 v2, 3, v0
	s_addc_u32 s5, s3, s5
	v_mov_b32_e32 v3, s5
	v_add_co_u32_e32 v4, vcc, s4, v2
	v_mov_b32_e32 v2, 0
	v_addc_co_u32_e32 v5, vcc, 0, v3, vcc
	s_mov_b64 s[4:5], 0
	v_mov_b32_e32 v6, v0
	v_mov_b32_e32 v3, v2
.LBB24_4:                               ; =>This Inner Loop Header: Depth=1
	global_load_dwordx2 v[8:9], v[4:5], off
	ds_read_b64 v[10:11], v1
	v_add_co_u32_e32 v4, vcc, 0x2000, v4
	v_add_u32_e32 v6, 0x400, v6
	v_addc_co_u32_e32 v5, vcc, 0, v5, vcc
	v_cmp_le_i32_e32 vcc, s22, v6
	v_add_u32_e32 v1, 0x2000, v1
	s_or_b64 s[4:5], vcc, s[4:5]
	s_waitcnt vmcnt(0)
	v_mov_b32_e32 v12, v9
	s_waitcnt lgkmcnt(0)
	v_pk_mul_f32 v[14:15], v[8:9], v[10:11] op_sel:[0,1] op_sel_hi:[1,0]
	v_pk_mul_f32 v[12:13], v[12:13], v[10:11] op_sel:[0,1] op_sel_hi:[1,0]
	v_mov_b32_e32 v14, v15
	v_pk_fma_f32 v[12:13], v[8:9], v[10:11], v[12:13]
	v_pk_fma_f32 v[8:9], v[8:9], v[10:11], v[14:15] op_sel:[0,1,0] op_sel_hi:[1,0,1] neg_lo:[0,0,1] neg_hi:[0,0,1]
	v_mov_b32_e32 v9, v12
	v_pk_add_f32 v[2:3], v[2:3], v[8:9]
	s_andn2_b64 exec, exec, s[4:5]
	s_cbranch_execnz .LBB24_4
; %bb.5:
	s_or_b64 exec, exec, s[4:5]
	v_mov_b32_e32 v5, v2
	v_mov_b32_e32 v4, v3
.LBB24_6:
	s_or_b64 exec, exec, s[6:7]
	v_mbcnt_lo_u32_b32 v1, -1, 0
	v_mbcnt_hi_u32_b32 v1, -1, v1
	v_and_b32_e32 v6, 63, v1
	v_cmp_ne_u32_e32 vcc, 63, v6
	v_addc_co_u32_e32 v2, vcc, 0, v1, vcc
	v_lshlrev_b32_e32 v3, 2, v2
	ds_bpermute_b32 v2, v3, v4
	ds_bpermute_b32 v3, v3, v5
	v_cmp_gt_u32_e32 vcc, 62, v6
	v_cndmask_b32_e64 v7, 0, 1, vcc
	v_lshlrev_b32_e32 v7, 1, v7
	v_add_lshl_u32 v7, v7, v1, 2
	s_waitcnt lgkmcnt(0)
	v_pk_add_f32 v[2:3], v[4:5], v[2:3]
	ds_bpermute_b32 v4, v7, v2
	ds_bpermute_b32 v5, v7, v3
	v_cmp_gt_u32_e32 vcc, 60, v6
	v_cndmask_b32_e64 v7, 0, 1, vcc
	v_lshlrev_b32_e32 v7, 2, v7
	v_add_lshl_u32 v7, v7, v1, 2
	s_waitcnt lgkmcnt(0)
	v_pk_add_f32 v[2:3], v[2:3], v[4:5]
	;; [unrolled: 8-line block ×5, first 2 shown]
	ds_bpermute_b32 v4, v1, v2
	ds_bpermute_b32 v5, v1, v3
	v_and_b32_e32 v1, 63, v0
	v_cmp_eq_u32_e32 vcc, 0, v1
	s_waitcnt lgkmcnt(0)
	v_pk_add_f32 v[2:3], v[2:3], v[4:5]
	s_and_saveexec_b64 s[4:5], vcc
	s_cbranch_execz .LBB24_8
; %bb.7:
	v_lshrrev_b32_e32 v1, 3, v0
	v_add_u32_e32 v1, 0, v1
	ds_write2_b32 v1, v2, v3 offset1:1
.LBB24_8:
	s_or_b64 exec, exec, s[4:5]
	v_cmp_eq_u32_e32 vcc, 0, v0
	s_waitcnt lgkmcnt(0)
	s_barrier
	s_and_saveexec_b64 s[4:5], vcc
	s_cbranch_execz .LBB24_10
; %bb.9:
	v_mov_b32_e32 v1, 0
	ds_read2_b64 v[4:7], v1 offset0:1 offset1:2
	ds_read2_b64 v[8:11], v1 offset0:3 offset1:4
	;; [unrolled: 1-line block ×4, first 2 shown]
	s_waitcnt lgkmcnt(3)
	v_pk_add_f32 v[2:3], v[2:3], v[4:5]
	v_pk_add_f32 v[2:3], v[2:3], v[6:7]
	s_waitcnt lgkmcnt(2)
	v_pk_add_f32 v[2:3], v[2:3], v[8:9]
	v_pk_add_f32 v[2:3], v[2:3], v[10:11]
	s_waitcnt lgkmcnt(1)
	v_pk_add_f32 v[6:7], v[2:3], v[12:13]
	ds_read2_b64 v[2:5], v1 offset0:9 offset1:10
	v_pk_add_f32 v[6:7], v[6:7], v[14:15]
	s_waitcnt lgkmcnt(1)
	v_pk_add_f32 v[6:7], v[6:7], v[16:17]
	v_pk_add_f32 v[10:11], v[6:7], v[18:19]
	ds_read2_b64 v[6:9], v1 offset0:11 offset1:12
	s_waitcnt lgkmcnt(1)
	v_pk_add_f32 v[2:3], v[10:11], v[2:3]
	ds_read2_b64 v[10:13], v1 offset0:13 offset1:14
	v_pk_add_f32 v[2:3], v[2:3], v[4:5]
	ds_read_b64 v[4:5], v1 offset:120
	s_waitcnt lgkmcnt(2)
	v_pk_add_f32 v[2:3], v[2:3], v[6:7]
	v_pk_add_f32 v[2:3], v[2:3], v[8:9]
	s_waitcnt lgkmcnt(1)
	v_pk_add_f32 v[2:3], v[2:3], v[10:11]
	v_pk_add_f32 v[2:3], v[2:3], v[12:13]
	s_waitcnt lgkmcnt(0)
	v_pk_add_f32 v[2:3], v[2:3], v[4:5]
	ds_write_b64 v1, v[2:3]
.LBB24_10:
	s_or_b64 exec, exec, s[4:5]
	s_waitcnt lgkmcnt(0)
	s_barrier
	s_and_saveexec_b64 s[4:5], s[0:1]
	s_cbranch_execz .LBB24_20
; %bb.11:
	s_mul_i32 s0, s8, s15
	s_mul_hi_u32 s1, s8, s14
	s_add_i32 s0, s1, s0
	s_mul_i32 s1, s9, s14
	s_add_i32 s1, s0, s1
	s_mul_i32 s0, s8, s14
	s_lshl_b64 s[0:1], s[0:1], 3
	s_add_u32 s0, s12, s0
	s_addc_u32 s1, s13, s1
	v_mov_b32_e32 v7, 0
	s_load_dwordx2 s[0:1], s[0:1], 0x0
	ds_read_b64 v[4:5], v7
	s_mov_b64 s[4:5], 0
	s_waitcnt lgkmcnt(0)
	v_mul_f32_e32 v1, s1, v5
	v_fma_f32 v2, v4, -s0, -v1
	v_mul_f32_e32 v1, s1, v4
	v_fma_f32 v4, s0, v5, -v1
	v_xad_u32 v1, v0, -1, s22
	s_movk_i32 s0, 0x3ff
	v_cmp_lt_u32_e32 vcc, s0, v1
	s_and_saveexec_b64 s[0:1], vcc
	s_xor_b64 s[0:1], exec, s[0:1]
	s_cbranch_execnz .LBB24_14
; %bb.12:
	s_andn2_saveexec_b64 s[0:1], s[0:1]
	s_cbranch_execnz .LBB24_17
.LBB24_13:
	s_or_b64 exec, exec, s[0:1]
	s_and_b64 exec, exec, s[4:5]
	s_cbranch_execnz .LBB24_18
	s_branch .LBB24_20
.LBB24_14:
	s_lshl_b64 s[4:5], s[18:19], 3
	s_add_u32 s6, s2, s4
	v_lshrrev_b32_e32 v1, 10, v1
	s_addc_u32 s7, s3, s5
	s_lshl_b64 s[4:5], s[10:11], 3
	v_add_u32_e32 v10, 1, v1
	s_add_u32 s6, s6, s4
	s_addc_u32 s7, s7, s5
	v_and_b32_e32 v11, 0x7ffffe, v10
	v_or_b32_e32 v1, 0x400, v0
	v_lshl_add_u32 v6, v0, 3, 0
	v_mov_b32_e32 v3, v2
	v_mov_b32_e32 v5, v4
	v_add_u32_e32 v12, 0x80, v6
	s_mov_b64 s[4:5], 0
	v_mov_b32_e32 v13, s7
	v_mov_b32_e32 v14, v11
	v_pk_mov_b32 v[8:9], v[0:1], v[0:1] op_sel:[0,1]
.LBB24_15:                              ; =>This Inner Loop Header: Depth=1
	v_mov_b32_e32 v6, v8
	v_lshlrev_b64 v[16:17], 3, v[6:7]
	v_mov_b32_e32 v6, v9
	v_add_co_u32_e32 v20, vcc, s6, v16
	v_addc_co_u32_e32 v21, vcc, v13, v17, vcc
	v_lshlrev_b64 v[16:17], 3, v[6:7]
	v_add_co_u32_e32 v22, vcc, s6, v16
	v_addc_co_u32_e32 v23, vcc, v13, v17, vcc
	global_load_dwordx2 v[24:25], v[20:21], off
	global_load_dwordx2 v[26:27], v[22:23], off
	ds_read2st64_b64 v[16:19], v12 offset1:16
	v_add_u32_e32 v14, -2, v14
	v_cmp_eq_u32_e32 vcc, 0, v14
	v_add_u32_e32 v8, 0x800, v8
	v_add_u32_e32 v12, 0x4000, v12
	s_waitcnt lgkmcnt(0)
	v_mov_b32_e32 v29, v18
	v_mov_b32_e32 v18, v17
	;; [unrolled: 1-line block ×3, first 2 shown]
	v_pk_mul_f32 v[16:17], v[4:5], v[18:19]
	v_pk_mul_f32 v[18:19], v[2:3], v[18:19]
	v_pk_fma_f32 v[16:17], v[2:3], v[28:29], v[16:17] neg_lo:[0,0,1] neg_hi:[0,0,1]
	v_pk_fma_f32 v[18:19], v[4:5], v[28:29], v[18:19]
	v_add_u32_e32 v9, 0x800, v9
	s_or_b64 s[4:5], vcc, s[4:5]
	s_waitcnt vmcnt(1)
	v_mov_b32_e32 v28, v24
	s_waitcnt vmcnt(0)
	v_mov_b32_e32 v29, v26
	v_mov_b32_e32 v26, v25
	v_pk_add_f32 v[16:17], v[28:29], v[16:17]
	v_pk_add_f32 v[18:19], v[26:27], v[18:19]
	v_mov_b32_e32 v24, v16
	v_mov_b32_e32 v25, v18
	;; [unrolled: 1-line block ×3, first 2 shown]
	global_store_dwordx2 v[20:21], v[24:25], off
	global_store_dwordx2 v[22:23], v[18:19], off
	s_andn2_b64 exec, exec, s[4:5]
	s_cbranch_execnz .LBB24_15
; %bb.16:
	s_or_b64 exec, exec, s[4:5]
	v_cmp_ne_u32_e32 vcc, v10, v11
	v_lshl_or_b32 v0, v11, 10, v0
	s_and_b64 s[4:5], vcc, exec
	s_andn2_saveexec_b64 s[0:1], s[0:1]
	s_cbranch_execz .LBB24_13
.LBB24_17:
	s_or_b64 s[4:5], s[4:5], exec
	s_or_b64 exec, exec, s[0:1]
	s_and_b64 exec, exec, s[4:5]
	s_cbranch_execz .LBB24_20
.LBB24_18:
	s_lshl_b64 s[0:1], s[10:11], 3
	s_lshl_b64 s[4:5], s[18:19], 3
	s_add_u32 s0, s0, s4
	v_lshl_add_u32 v1, v0, 3, 0
	s_addc_u32 s1, s1, s5
	v_add_u32_e32 v8, 0x80, v1
	v_mov_b32_e32 v1, 0
	s_add_u32 s0, s2, s0
	v_lshlrev_b64 v[6:7], 3, v[0:1]
	s_addc_u32 s1, s3, s1
	v_mov_b32_e32 v1, s1
	v_add_co_u32_e32 v6, vcc, s0, v6
	v_mov_b32_e32 v5, v4
	v_mov_b32_e32 v3, v2
	v_addc_co_u32_e32 v7, vcc, v1, v7, vcc
	s_mov_b64 s[0:1], 0
.LBB24_19:                              ; =>This Inner Loop Header: Depth=1
	global_load_dwordx2 v[10:11], v[6:7], off
	ds_read_b64 v[12:13], v8
	v_add_u32_e32 v0, 0x400, v0
	v_cmp_le_i32_e32 vcc, s22, v0
	s_or_b64 s[0:1], vcc, s[0:1]
	v_add_u32_e32 v8, 0x2000, v8
	s_waitcnt lgkmcnt(0)
	v_pk_mul_f32 v[14:15], v[4:5], v[12:13]
	v_pk_fma_f32 v[16:17], v[2:3], v[12:13], v[14:15] op_sel:[0,0,1] op_sel_hi:[1,1,0] neg_lo:[0,0,1] neg_hi:[0,0,1]
	v_pk_fma_f32 v[12:13], v[2:3], v[12:13], v[14:15] op_sel:[0,0,1] op_sel_hi:[1,1,0]
	v_mov_b32_e32 v17, v13
	s_waitcnt vmcnt(0)
	v_pk_add_f32 v[10:11], v[10:11], v[16:17]
	global_store_dwordx2 v[6:7], v[10:11], off
	v_add_co_u32_e32 v6, vcc, 0x2000, v6
	v_addc_co_u32_e32 v7, vcc, 0, v7, vcc
	s_andn2_b64 exec, exec, s[0:1]
	s_cbranch_execnz .LBB24_19
.LBB24_20:
	s_endpgm
	.section	.rodata,"a",@progbits
	.p2align	6, 0x0
	.amdhsa_kernel _ZN9rocsolver6v33100L16larf_left_kernelILi1024E19rocblas_complex_numIfEiPKPS3_EEvT1_S7_T2_lS7_lPKT0_lS8_lS7_l
		.amdhsa_group_segment_fixed_size 0
		.amdhsa_private_segment_fixed_size 0
		.amdhsa_kernarg_size 88
		.amdhsa_user_sgpr_count 6
		.amdhsa_user_sgpr_private_segment_buffer 1
		.amdhsa_user_sgpr_dispatch_ptr 0
		.amdhsa_user_sgpr_queue_ptr 0
		.amdhsa_user_sgpr_kernarg_segment_ptr 1
		.amdhsa_user_sgpr_dispatch_id 0
		.amdhsa_user_sgpr_flat_scratch_init 0
		.amdhsa_user_sgpr_kernarg_preload_length 0
		.amdhsa_user_sgpr_kernarg_preload_offset 0
		.amdhsa_user_sgpr_private_segment_size 0
		.amdhsa_uses_dynamic_stack 0
		.amdhsa_system_sgpr_private_segment_wavefront_offset 0
		.amdhsa_system_sgpr_workgroup_id_x 1
		.amdhsa_system_sgpr_workgroup_id_y 1
		.amdhsa_system_sgpr_workgroup_id_z 1
		.amdhsa_system_sgpr_workgroup_info 0
		.amdhsa_system_vgpr_workitem_id 0
		.amdhsa_next_free_vgpr 30
		.amdhsa_next_free_sgpr 28
		.amdhsa_accum_offset 32
		.amdhsa_reserve_vcc 1
		.amdhsa_reserve_flat_scratch 0
		.amdhsa_float_round_mode_32 0
		.amdhsa_float_round_mode_16_64 0
		.amdhsa_float_denorm_mode_32 3
		.amdhsa_float_denorm_mode_16_64 3
		.amdhsa_dx10_clamp 1
		.amdhsa_ieee_mode 1
		.amdhsa_fp16_overflow 0
		.amdhsa_tg_split 0
		.amdhsa_exception_fp_ieee_invalid_op 0
		.amdhsa_exception_fp_denorm_src 0
		.amdhsa_exception_fp_ieee_div_zero 0
		.amdhsa_exception_fp_ieee_overflow 0
		.amdhsa_exception_fp_ieee_underflow 0
		.amdhsa_exception_fp_ieee_inexact 0
		.amdhsa_exception_int_div_zero 0
	.end_amdhsa_kernel
	.section	.text._ZN9rocsolver6v33100L16larf_left_kernelILi1024E19rocblas_complex_numIfEiPKPS3_EEvT1_S7_T2_lS7_lPKT0_lS8_lS7_l,"axG",@progbits,_ZN9rocsolver6v33100L16larf_left_kernelILi1024E19rocblas_complex_numIfEiPKPS3_EEvT1_S7_T2_lS7_lPKT0_lS8_lS7_l,comdat
.Lfunc_end24:
	.size	_ZN9rocsolver6v33100L16larf_left_kernelILi1024E19rocblas_complex_numIfEiPKPS3_EEvT1_S7_T2_lS7_lPKT0_lS8_lS7_l, .Lfunc_end24-_ZN9rocsolver6v33100L16larf_left_kernelILi1024E19rocblas_complex_numIfEiPKPS3_EEvT1_S7_T2_lS7_lPKT0_lS8_lS7_l
                                        ; -- End function
	.section	.AMDGPU.csdata,"",@progbits
; Kernel info:
; codeLenInByte = 1812
; NumSgprs: 32
; NumVgprs: 30
; NumAgprs: 0
; TotalNumVgprs: 30
; ScratchSize: 0
; MemoryBound: 0
; FloatMode: 240
; IeeeMode: 1
; LDSByteSize: 0 bytes/workgroup (compile time only)
; SGPRBlocks: 3
; VGPRBlocks: 3
; NumSGPRsForWavesPerEU: 32
; NumVGPRsForWavesPerEU: 30
; AccumOffset: 32
; Occupancy: 8
; WaveLimiterHint : 1
; COMPUTE_PGM_RSRC2:SCRATCH_EN: 0
; COMPUTE_PGM_RSRC2:USER_SGPR: 6
; COMPUTE_PGM_RSRC2:TRAP_HANDLER: 0
; COMPUTE_PGM_RSRC2:TGID_X_EN: 1
; COMPUTE_PGM_RSRC2:TGID_Y_EN: 1
; COMPUTE_PGM_RSRC2:TGID_Z_EN: 1
; COMPUTE_PGM_RSRC2:TIDIG_COMP_CNT: 0
; COMPUTE_PGM_RSRC3_GFX90A:ACCUM_OFFSET: 7
; COMPUTE_PGM_RSRC3_GFX90A:TG_SPLIT: 0
	.section	.text._ZN9rocsolver6v33100L17larf_right_kernelILi1024E19rocblas_complex_numIfEiPKPS3_EEvT1_S7_T2_lS7_lPKT0_lS8_lS7_l,"axG",@progbits,_ZN9rocsolver6v33100L17larf_right_kernelILi1024E19rocblas_complex_numIfEiPKPS3_EEvT1_S7_T2_lS7_lPKT0_lS8_lS7_l,comdat
	.globl	_ZN9rocsolver6v33100L17larf_right_kernelILi1024E19rocblas_complex_numIfEiPKPS3_EEvT1_S7_T2_lS7_lPKT0_lS8_lS7_l ; -- Begin function _ZN9rocsolver6v33100L17larf_right_kernelILi1024E19rocblas_complex_numIfEiPKPS3_EEvT1_S7_T2_lS7_lPKT0_lS8_lS7_l
	.p2align	8
	.type	_ZN9rocsolver6v33100L17larf_right_kernelILi1024E19rocblas_complex_numIfEiPKPS3_EEvT1_S7_T2_lS7_lPKT0_lS8_lS7_l,@function
_ZN9rocsolver6v33100L17larf_right_kernelILi1024E19rocblas_complex_numIfEiPKPS3_EEvT1_S7_T2_lS7_lPKT0_lS8_lS7_l: ; @_ZN9rocsolver6v33100L17larf_right_kernelILi1024E19rocblas_complex_numIfEiPKPS3_EEvT1_S7_T2_lS7_lPKT0_lS8_lS7_l
; %bb.0:
	s_load_dwordx8 s[12:19], s[4:5], 0x28
	s_load_dword s22, s[4:5], 0x4
	s_load_dword s2, s[4:5], 0x48
	s_ashr_i32 s9, s8, 31
	s_lshl_b64 s[0:1], s[8:9], 3
	s_waitcnt lgkmcnt(0)
	s_add_u32 s10, s16, s0
	s_addc_u32 s11, s17, s1
	s_load_dwordx2 s[10:11], s[10:11], 0x0
	v_mov_b32_e32 v3, 0
	s_mov_b32 s6, s7
	s_ashr_i32 s7, s7, 31
	v_cmp_gt_i32_e32 vcc, s22, v0
	v_lshl_add_u32 v1, v0, 3, 0
	v_mov_b32_e32 v2, v3
	s_and_saveexec_b64 s[16:17], vcc
	s_cbranch_execz .LBB25_6
; %bb.1:
	s_load_dword s20, s[4:5], 0x18
	s_load_dwordx4 s[24:27], s[4:5], 0x8
	s_sub_i32 s3, 1, s22
	v_add_u32_e32 v6, 0x80, v1
	v_mov_b32_e32 v5, v6
	s_waitcnt lgkmcnt(0)
	s_ashr_i32 s21, s20, 31
	v_cmp_lt_i64_e64 s[4:5], s[20:21], 1
	s_mul_i32 s3, s3, s20
	s_and_b64 s[4:5], s[4:5], exec
	s_cselect_b32 s4, s3, 0
	s_ashr_i32 s5, s4, 31
	s_add_u32 s0, s24, s0
	s_addc_u32 s1, s25, s1
	s_load_dwordx2 s[0:1], s[0:1], 0x0
	v_mad_i64_i32 v[2:3], s[24:25], s20, v0, 0
	s_lshl_b64 s[24:25], s[26:27], 3
	s_lshl_b64 s[4:5], s[4:5], 3
	s_waitcnt lgkmcnt(0)
	s_add_u32 s0, s0, s4
	s_addc_u32 s1, s1, s5
	s_add_u32 s0, s0, s24
	v_lshlrev_b64 v[2:3], 3, v[2:3]
	s_addc_u32 s1, s1, s25
	v_mov_b32_e32 v4, s1
	v_add_co_u32_e64 v2, s[0:1], s0, v2
	s_lshl_b64 s[20:21], s[20:21], 13
	v_addc_co_u32_e64 v3, s[0:1], v4, v3, s[0:1]
	s_mov_b64 s[4:5], 0
	v_mov_b32_e32 v4, s21
	v_mov_b32_e32 v7, v0
.LBB25_2:                               ; =>This Inner Loop Header: Depth=1
	global_load_dwordx2 v[8:9], v[2:3], off
	v_add_co_u32_e64 v2, s[0:1], s20, v2
	v_add_u32_e32 v7, 0x400, v7
	v_addc_co_u32_e64 v3, s[0:1], v3, v4, s[0:1]
	v_cmp_le_i32_e64 s[0:1], s22, v7
	s_or_b64 s[4:5], s[0:1], s[4:5]
	s_waitcnt vmcnt(0)
	ds_write_b64 v5, v[8:9]
	v_add_u32_e32 v5, 0x2000, v5
	s_andn2_b64 exec, exec, s[4:5]
	s_cbranch_execnz .LBB25_2
; %bb.3:
	s_or_b64 exec, exec, s[4:5]
	v_mad_i64_i32 v[2:3], s[0:1], s2, v0, 0
	s_ashr_i32 s3, s2, 31
	s_lshl_b64 s[0:1], s[18:19], 3
	s_lshl_b64 s[4:5], s[6:7], 3
	s_add_u32 s4, s10, s4
	s_addc_u32 s5, s11, s5
	s_add_u32 s0, s4, s0
	v_lshlrev_b64 v[2:3], 3, v[2:3]
	s_addc_u32 s1, s5, s1
	v_mov_b32_e32 v5, s1
	v_add_co_u32_e64 v4, s[0:1], s0, v2
	v_addc_co_u32_e64 v5, s[0:1], v5, v3, s[0:1]
	s_lshl_b64 s[20:21], s[2:3], 13
	v_mov_b32_e32 v3, 0
	s_mov_b64 s[4:5], 0
	v_mov_b32_e32 v7, s21
	v_mov_b32_e32 v8, v0
	;; [unrolled: 1-line block ×3, first 2 shown]
.LBB25_4:                               ; =>This Inner Loop Header: Depth=1
	global_load_dwordx2 v[10:11], v[4:5], off
	ds_read_b64 v[12:13], v6
	v_add_co_u32_e64 v4, s[0:1], s20, v4
	v_add_u32_e32 v8, 0x400, v8
	v_addc_co_u32_e64 v5, s[0:1], v5, v7, s[0:1]
	v_cmp_le_i32_e64 s[0:1], s22, v8
	v_add_u32_e32 v6, 0x2000, v6
	s_or_b64 s[4:5], s[0:1], s[4:5]
	s_waitcnt vmcnt(0) lgkmcnt(0)
	v_mul_f32_e32 v9, v13, v11
	v_mul_f32_e32 v11, v12, v11
	v_fma_f32 v9, v12, v10, -v9
	v_fmac_f32_e32 v11, v13, v10
	v_add_f32_e32 v2, v2, v9
	v_add_f32_e32 v3, v3, v11
	s_andn2_b64 exec, exec, s[4:5]
	s_cbranch_execnz .LBB25_4
; %bb.5:
	s_or_b64 exec, exec, s[4:5]
.LBB25_6:
	s_or_b64 exec, exec, s[16:17]
	v_mbcnt_lo_u32_b32 v4, -1, 0
	v_mbcnt_hi_u32_b32 v6, -1, v4
	v_and_b32_e32 v7, 63, v6
	v_cmp_ne_u32_e64 s[0:1], 63, v7
	v_addc_co_u32_e64 v4, s[0:1], 0, v6, s[0:1]
	v_lshlrev_b32_e32 v5, 2, v4
	ds_bpermute_b32 v4, v5, v2
	ds_bpermute_b32 v5, v5, v3
	v_cmp_gt_u32_e64 s[0:1], 62, v7
	v_cndmask_b32_e64 v8, 0, 1, s[0:1]
	v_lshlrev_b32_e32 v8, 1, v8
	v_add_lshl_u32 v8, v8, v6, 2
	s_waitcnt lgkmcnt(0)
	v_pk_add_f32 v[2:3], v[2:3], v[4:5]
	ds_bpermute_b32 v4, v8, v2
	ds_bpermute_b32 v5, v8, v3
	v_cmp_gt_u32_e64 s[0:1], 60, v7
	v_cndmask_b32_e64 v8, 0, 1, s[0:1]
	v_lshlrev_b32_e32 v8, 2, v8
	v_add_lshl_u32 v8, v8, v6, 2
	s_waitcnt lgkmcnt(0)
	v_pk_add_f32 v[2:3], v[2:3], v[4:5]
	;; [unrolled: 8-line block ×5, first 2 shown]
	ds_bpermute_b32 v4, v6, v2
	ds_bpermute_b32 v5, v6, v3
	s_waitcnt lgkmcnt(0)
	v_pk_add_f32 v[2:3], v[2:3], v[4:5]
	v_and_b32_e32 v4, 63, v0
	v_cmp_eq_u32_e64 s[0:1], 0, v4
	s_and_saveexec_b64 s[4:5], s[0:1]
	s_cbranch_execz .LBB25_8
; %bb.7:
	v_lshrrev_b32_e32 v4, 3, v0
	v_add_u32_e32 v4, 0, v4
	ds_write2_b32 v4, v2, v3 offset1:1
.LBB25_8:
	s_or_b64 exec, exec, s[4:5]
	v_cmp_eq_u32_e64 s[0:1], 0, v0
	s_waitcnt lgkmcnt(0)
	s_barrier
	s_and_saveexec_b64 s[4:5], s[0:1]
	s_cbranch_execz .LBB25_10
; %bb.9:
	v_mov_b32_e32 v20, 0
	ds_read2_b64 v[4:7], v20 offset0:1 offset1:2
	ds_read2_b64 v[8:11], v20 offset0:3 offset1:4
	;; [unrolled: 1-line block ×4, first 2 shown]
	s_waitcnt lgkmcnt(3)
	v_pk_add_f32 v[2:3], v[2:3], v[4:5]
	v_pk_add_f32 v[2:3], v[2:3], v[6:7]
	s_waitcnt lgkmcnt(2)
	v_pk_add_f32 v[2:3], v[2:3], v[8:9]
	v_pk_add_f32 v[2:3], v[2:3], v[10:11]
	s_waitcnt lgkmcnt(1)
	v_pk_add_f32 v[6:7], v[2:3], v[12:13]
	ds_read2_b64 v[2:5], v20 offset0:9 offset1:10
	v_pk_add_f32 v[6:7], v[6:7], v[14:15]
	s_waitcnt lgkmcnt(1)
	v_pk_add_f32 v[6:7], v[6:7], v[16:17]
	v_pk_add_f32 v[10:11], v[6:7], v[18:19]
	ds_read2_b64 v[6:9], v20 offset0:11 offset1:12
	s_waitcnt lgkmcnt(1)
	v_pk_add_f32 v[2:3], v[10:11], v[2:3]
	ds_read2_b64 v[10:13], v20 offset0:13 offset1:14
	v_pk_add_f32 v[2:3], v[2:3], v[4:5]
	ds_read_b64 v[4:5], v20 offset:120
	s_waitcnt lgkmcnt(2)
	v_pk_add_f32 v[2:3], v[2:3], v[6:7]
	v_pk_add_f32 v[2:3], v[2:3], v[8:9]
	s_waitcnt lgkmcnt(1)
	v_pk_add_f32 v[2:3], v[2:3], v[10:11]
	v_pk_add_f32 v[2:3], v[2:3], v[12:13]
	s_waitcnt lgkmcnt(0)
	v_pk_add_f32 v[2:3], v[2:3], v[4:5]
	ds_write_b64 v20, v[2:3]
.LBB25_10:
	s_or_b64 exec, exec, s[4:5]
	s_waitcnt lgkmcnt(0)
	s_barrier
	s_and_saveexec_b64 s[0:1], vcc
	s_cbranch_execz .LBB25_13
; %bb.11:
	s_mul_i32 s0, s8, s15
	s_mul_hi_u32 s1, s8, s14
	s_add_i32 s0, s1, s0
	s_mul_i32 s1, s9, s14
	s_add_i32 s1, s0, s1
	s_mul_i32 s0, s8, s14
	s_lshl_b64 s[0:1], s[0:1], 3
	s_add_u32 s0, s12, s0
	s_addc_u32 s1, s13, s1
	v_mov_b32_e32 v2, 0
	ds_read_b64 v[4:5], v2
	s_load_dwordx2 s[0:1], s[0:1], 0x0
	s_ashr_i32 s3, s2, 31
	s_lshl_b64 s[4:5], s[6:7], 3
	v_add_u32_e32 v1, 0x80, v1
	s_waitcnt lgkmcnt(0)
	v_mul_f32_e32 v2, s0, v5
	v_mul_f32_e32 v3, s0, v4
	v_fma_f32 v2, v4, -s1, -v2
	v_fma_f32 v4, s1, v5, -v3
	v_mad_i64_i32 v[6:7], s[0:1], s2, v0, 0
	s_lshl_b64 s[0:1], s[18:19], 3
	s_add_u32 s4, s10, s4
	s_addc_u32 s5, s11, s5
	s_add_u32 s0, s4, s0
	v_lshlrev_b64 v[6:7], 3, v[6:7]
	s_addc_u32 s1, s5, s1
	v_mov_b32_e32 v8, s1
	v_add_co_u32_e32 v6, vcc, s0, v6
	s_lshl_b64 s[0:1], s[2:3], 13
	v_mov_b32_e32 v3, v2
	v_mov_b32_e32 v5, v4
	v_addc_co_u32_e32 v7, vcc, v8, v7, vcc
	s_mov_b64 s[2:3], 0
	v_mov_b32_e32 v8, s1
.LBB25_12:                              ; =>This Inner Loop Header: Depth=1
	global_load_dwordx2 v[10:11], v[6:7], off
	ds_read_b64 v[12:13], v1
	v_add_u32_e32 v0, 0x400, v0
	v_cmp_le_i32_e32 vcc, s22, v0
	s_or_b64 s[2:3], vcc, s[2:3]
	v_add_u32_e32 v1, 0x2000, v1
	s_waitcnt lgkmcnt(0)
	v_pk_mul_f32 v[14:15], v[2:3], v[12:13]
	v_pk_fma_f32 v[16:17], v[4:5], v[12:13], v[14:15] op_sel:[0,0,1] op_sel_hi:[1,1,0]
	v_pk_fma_f32 v[12:13], v[4:5], v[12:13], v[14:15] op_sel:[0,0,1] op_sel_hi:[1,1,0] neg_lo:[1,0,0] neg_hi:[1,0,0]
	v_mov_b32_e32 v17, v13
	s_waitcnt vmcnt(0)
	v_pk_add_f32 v[10:11], v[10:11], v[16:17]
	global_store_dwordx2 v[6:7], v[10:11], off
	v_add_co_u32_e32 v6, vcc, s0, v6
	v_addc_co_u32_e32 v7, vcc, v7, v8, vcc
	s_andn2_b64 exec, exec, s[2:3]
	s_cbranch_execnz .LBB25_12
.LBB25_13:
	s_endpgm
	.section	.rodata,"a",@progbits
	.p2align	6, 0x0
	.amdhsa_kernel _ZN9rocsolver6v33100L17larf_right_kernelILi1024E19rocblas_complex_numIfEiPKPS3_EEvT1_S7_T2_lS7_lPKT0_lS8_lS7_l
		.amdhsa_group_segment_fixed_size 0
		.amdhsa_private_segment_fixed_size 0
		.amdhsa_kernarg_size 88
		.amdhsa_user_sgpr_count 6
		.amdhsa_user_sgpr_private_segment_buffer 1
		.amdhsa_user_sgpr_dispatch_ptr 0
		.amdhsa_user_sgpr_queue_ptr 0
		.amdhsa_user_sgpr_kernarg_segment_ptr 1
		.amdhsa_user_sgpr_dispatch_id 0
		.amdhsa_user_sgpr_flat_scratch_init 0
		.amdhsa_user_sgpr_kernarg_preload_length 0
		.amdhsa_user_sgpr_kernarg_preload_offset 0
		.amdhsa_user_sgpr_private_segment_size 0
		.amdhsa_uses_dynamic_stack 0
		.amdhsa_system_sgpr_private_segment_wavefront_offset 0
		.amdhsa_system_sgpr_workgroup_id_x 1
		.amdhsa_system_sgpr_workgroup_id_y 1
		.amdhsa_system_sgpr_workgroup_id_z 1
		.amdhsa_system_sgpr_workgroup_info 0
		.amdhsa_system_vgpr_workitem_id 0
		.amdhsa_next_free_vgpr 21
		.amdhsa_next_free_sgpr 28
		.amdhsa_accum_offset 24
		.amdhsa_reserve_vcc 1
		.amdhsa_reserve_flat_scratch 0
		.amdhsa_float_round_mode_32 0
		.amdhsa_float_round_mode_16_64 0
		.amdhsa_float_denorm_mode_32 3
		.amdhsa_float_denorm_mode_16_64 3
		.amdhsa_dx10_clamp 1
		.amdhsa_ieee_mode 1
		.amdhsa_fp16_overflow 0
		.amdhsa_tg_split 0
		.amdhsa_exception_fp_ieee_invalid_op 0
		.amdhsa_exception_fp_denorm_src 0
		.amdhsa_exception_fp_ieee_div_zero 0
		.amdhsa_exception_fp_ieee_overflow 0
		.amdhsa_exception_fp_ieee_underflow 0
		.amdhsa_exception_fp_ieee_inexact 0
		.amdhsa_exception_int_div_zero 0
	.end_amdhsa_kernel
	.section	.text._ZN9rocsolver6v33100L17larf_right_kernelILi1024E19rocblas_complex_numIfEiPKPS3_EEvT1_S7_T2_lS7_lPKT0_lS8_lS7_l,"axG",@progbits,_ZN9rocsolver6v33100L17larf_right_kernelILi1024E19rocblas_complex_numIfEiPKPS3_EEvT1_S7_T2_lS7_lPKT0_lS8_lS7_l,comdat
.Lfunc_end25:
	.size	_ZN9rocsolver6v33100L17larf_right_kernelILi1024E19rocblas_complex_numIfEiPKPS3_EEvT1_S7_T2_lS7_lPKT0_lS8_lS7_l, .Lfunc_end25-_ZN9rocsolver6v33100L17larf_right_kernelILi1024E19rocblas_complex_numIfEiPKPS3_EEvT1_S7_T2_lS7_lPKT0_lS8_lS7_l
                                        ; -- End function
	.section	.AMDGPU.csdata,"",@progbits
; Kernel info:
; codeLenInByte = 1460
; NumSgprs: 32
; NumVgprs: 21
; NumAgprs: 0
; TotalNumVgprs: 21
; ScratchSize: 0
; MemoryBound: 0
; FloatMode: 240
; IeeeMode: 1
; LDSByteSize: 0 bytes/workgroup (compile time only)
; SGPRBlocks: 3
; VGPRBlocks: 2
; NumSGPRsForWavesPerEU: 32
; NumVGPRsForWavesPerEU: 21
; AccumOffset: 24
; Occupancy: 8
; WaveLimiterHint : 0
; COMPUTE_PGM_RSRC2:SCRATCH_EN: 0
; COMPUTE_PGM_RSRC2:USER_SGPR: 6
; COMPUTE_PGM_RSRC2:TRAP_HANDLER: 0
; COMPUTE_PGM_RSRC2:TGID_X_EN: 1
; COMPUTE_PGM_RSRC2:TGID_Y_EN: 1
; COMPUTE_PGM_RSRC2:TGID_Z_EN: 1
; COMPUTE_PGM_RSRC2:TIDIG_COMP_CNT: 0
; COMPUTE_PGM_RSRC3_GFX90A:ACCUM_OFFSET: 5
; COMPUTE_PGM_RSRC3_GFX90A:TG_SPLIT: 0
	.section	.text._ZN9rocsolver6v33100L9get_arrayI19rocblas_complex_numIfEiEEvPPT_S5_lT0_,"axG",@progbits,_ZN9rocsolver6v33100L9get_arrayI19rocblas_complex_numIfEiEEvPPT_S5_lT0_,comdat
	.globl	_ZN9rocsolver6v33100L9get_arrayI19rocblas_complex_numIfEiEEvPPT_S5_lT0_ ; -- Begin function _ZN9rocsolver6v33100L9get_arrayI19rocblas_complex_numIfEiEEvPPT_S5_lT0_
	.p2align	8
	.type	_ZN9rocsolver6v33100L9get_arrayI19rocblas_complex_numIfEiEEvPPT_S5_lT0_,@function
_ZN9rocsolver6v33100L9get_arrayI19rocblas_complex_numIfEiEEvPPT_S5_lT0_: ; @_ZN9rocsolver6v33100L9get_arrayI19rocblas_complex_numIfEiEEvPPT_S5_lT0_
; %bb.0:
	s_load_dword s0, s[4:5], 0x2c
	s_load_dword s1, s[4:5], 0x18
	s_waitcnt lgkmcnt(0)
	s_and_b32 s0, s0, 0xffff
	s_mul_i32 s6, s6, s0
	v_add_u32_e32 v0, s6, v0
	v_cmp_gt_i32_e32 vcc, s1, v0
	s_and_saveexec_b64 s[0:1], vcc
	s_cbranch_execz .LBB26_2
; %bb.1:
	s_load_dwordx2 s[6:7], s[4:5], 0x10
	s_load_dwordx4 s[0:3], s[4:5], 0x0
	v_ashrrev_i32_e32 v1, 31, v0
	s_waitcnt lgkmcnt(0)
	v_mul_lo_u32 v4, v0, s7
	v_mul_lo_u32 v5, v1, s6
	v_mad_u64_u32 v[2:3], s[4:5], v0, s6, 0
	v_add3_u32 v3, v3, v4, v5
	v_lshlrev_b64 v[2:3], 3, v[2:3]
	v_mov_b32_e32 v4, s3
	v_add_co_u32_e32 v2, vcc, s2, v2
	v_addc_co_u32_e32 v3, vcc, v4, v3, vcc
	v_lshlrev_b64 v[0:1], 3, v[0:1]
	v_mov_b32_e32 v4, s1
	v_add_co_u32_e32 v0, vcc, s0, v0
	v_addc_co_u32_e32 v1, vcc, v4, v1, vcc
	global_store_dwordx2 v[0:1], v[2:3], off
.LBB26_2:
	s_endpgm
	.section	.rodata,"a",@progbits
	.p2align	6, 0x0
	.amdhsa_kernel _ZN9rocsolver6v33100L9get_arrayI19rocblas_complex_numIfEiEEvPPT_S5_lT0_
		.amdhsa_group_segment_fixed_size 0
		.amdhsa_private_segment_fixed_size 0
		.amdhsa_kernarg_size 288
		.amdhsa_user_sgpr_count 6
		.amdhsa_user_sgpr_private_segment_buffer 1
		.amdhsa_user_sgpr_dispatch_ptr 0
		.amdhsa_user_sgpr_queue_ptr 0
		.amdhsa_user_sgpr_kernarg_segment_ptr 1
		.amdhsa_user_sgpr_dispatch_id 0
		.amdhsa_user_sgpr_flat_scratch_init 0
		.amdhsa_user_sgpr_kernarg_preload_length 0
		.amdhsa_user_sgpr_kernarg_preload_offset 0
		.amdhsa_user_sgpr_private_segment_size 0
		.amdhsa_uses_dynamic_stack 0
		.amdhsa_system_sgpr_private_segment_wavefront_offset 0
		.amdhsa_system_sgpr_workgroup_id_x 1
		.amdhsa_system_sgpr_workgroup_id_y 0
		.amdhsa_system_sgpr_workgroup_id_z 0
		.amdhsa_system_sgpr_workgroup_info 0
		.amdhsa_system_vgpr_workitem_id 0
		.amdhsa_next_free_vgpr 6
		.amdhsa_next_free_sgpr 8
		.amdhsa_accum_offset 8
		.amdhsa_reserve_vcc 1
		.amdhsa_reserve_flat_scratch 0
		.amdhsa_float_round_mode_32 0
		.amdhsa_float_round_mode_16_64 0
		.amdhsa_float_denorm_mode_32 3
		.amdhsa_float_denorm_mode_16_64 3
		.amdhsa_dx10_clamp 1
		.amdhsa_ieee_mode 1
		.amdhsa_fp16_overflow 0
		.amdhsa_tg_split 0
		.amdhsa_exception_fp_ieee_invalid_op 0
		.amdhsa_exception_fp_denorm_src 0
		.amdhsa_exception_fp_ieee_div_zero 0
		.amdhsa_exception_fp_ieee_overflow 0
		.amdhsa_exception_fp_ieee_underflow 0
		.amdhsa_exception_fp_ieee_inexact 0
		.amdhsa_exception_int_div_zero 0
	.end_amdhsa_kernel
	.section	.text._ZN9rocsolver6v33100L9get_arrayI19rocblas_complex_numIfEiEEvPPT_S5_lT0_,"axG",@progbits,_ZN9rocsolver6v33100L9get_arrayI19rocblas_complex_numIfEiEEvPPT_S5_lT0_,comdat
.Lfunc_end26:
	.size	_ZN9rocsolver6v33100L9get_arrayI19rocblas_complex_numIfEiEEvPPT_S5_lT0_, .Lfunc_end26-_ZN9rocsolver6v33100L9get_arrayI19rocblas_complex_numIfEiEEvPPT_S5_lT0_
                                        ; -- End function
	.section	.AMDGPU.csdata,"",@progbits
; Kernel info:
; codeLenInByte = 156
; NumSgprs: 12
; NumVgprs: 6
; NumAgprs: 0
; TotalNumVgprs: 6
; ScratchSize: 0
; MemoryBound: 0
; FloatMode: 240
; IeeeMode: 1
; LDSByteSize: 0 bytes/workgroup (compile time only)
; SGPRBlocks: 1
; VGPRBlocks: 0
; NumSGPRsForWavesPerEU: 12
; NumVGPRsForWavesPerEU: 6
; AccumOffset: 8
; Occupancy: 8
; WaveLimiterHint : 0
; COMPUTE_PGM_RSRC2:SCRATCH_EN: 0
; COMPUTE_PGM_RSRC2:USER_SGPR: 6
; COMPUTE_PGM_RSRC2:TRAP_HANDLER: 0
; COMPUTE_PGM_RSRC2:TGID_X_EN: 1
; COMPUTE_PGM_RSRC2:TGID_Y_EN: 0
; COMPUTE_PGM_RSRC2:TGID_Z_EN: 0
; COMPUTE_PGM_RSRC2:TIDIG_COMP_CNT: 0
; COMPUTE_PGM_RSRC3_GFX90A:ACCUM_OFFSET: 1
; COMPUTE_PGM_RSRC3_GFX90A:TG_SPLIT: 0
	.section	.text._ZN9rocsolver6v33100L12restore_diagI19rocblas_complex_numIfEiS3_PKPS3_EEvPT1_llT2_lT0_lSA_,"axG",@progbits,_ZN9rocsolver6v33100L12restore_diagI19rocblas_complex_numIfEiS3_PKPS3_EEvPT1_llT2_lT0_lSA_,comdat
	.globl	_ZN9rocsolver6v33100L12restore_diagI19rocblas_complex_numIfEiS3_PKPS3_EEvPT1_llT2_lT0_lSA_ ; -- Begin function _ZN9rocsolver6v33100L12restore_diagI19rocblas_complex_numIfEiS3_PKPS3_EEvPT1_llT2_lT0_lSA_
	.p2align	8
	.type	_ZN9rocsolver6v33100L12restore_diagI19rocblas_complex_numIfEiS3_PKPS3_EEvPT1_llT2_lT0_lSA_,@function
_ZN9rocsolver6v33100L12restore_diagI19rocblas_complex_numIfEiS3_PKPS3_EEvPT1_llT2_lT0_lSA_: ; @_ZN9rocsolver6v33100L12restore_diagI19rocblas_complex_numIfEiS3_PKPS3_EEvPT1_llT2_lT0_lSA_
; %bb.0:
	s_load_dword s0, s[4:5], 0x4c
	s_load_dword s1, s[4:5], 0x38
	v_bfe_u32 v0, v0, 10, 10
	s_waitcnt lgkmcnt(0)
	s_lshr_b32 s0, s0, 16
	s_mul_i32 s7, s7, s0
	v_add_u32_e32 v0, s7, v0
	v_cmp_gt_i32_e32 vcc, s1, v0
	s_and_saveexec_b64 s[0:1], vcc
	s_cbranch_execz .LBB27_2
; %bb.1:
	s_load_dwordx8 s[8:15], s[4:5], 0x0
	s_ashr_i32 s7, s6, 31
	s_lshl_b64 s[0:1], s[6:7], 3
	s_waitcnt lgkmcnt(0)
	s_add_u32 s0, s14, s0
	s_addc_u32 s1, s15, s1
	s_load_dwordx2 s[2:3], s[4:5], 0x20
	s_load_dwordx2 s[14:15], s[0:1], 0x0
	s_load_dword s16, s[4:5], 0x28
	s_mul_i32 s4, s6, s13
	s_mul_hi_u32 s5, s6, s12
	s_waitcnt lgkmcnt(0)
	s_lshl_b64 s[0:1], s[2:3], 3
	s_add_u32 s2, s14, s0
	s_addc_u32 s3, s15, s1
	s_add_i32 s0, s5, s4
	s_mul_i32 s1, s7, s12
	s_add_i32 s1, s0, s1
	s_mul_i32 s0, s6, s12
	s_lshl_b64 s[0:1], s[0:1], 3
	s_add_u32 s4, s8, s0
	s_addc_u32 s5, s9, s1
	s_lshl_b64 s[0:1], s[10:11], 3
	s_add_u32 s4, s4, s0
	s_addc_u32 s5, s5, s1
	v_mad_u64_u32 v[2:3], s[0:1], v0, s16, v[0:1]
	v_ashrrev_i32_e32 v1, 31, v0
	v_lshlrev_b64 v[0:1], 3, v[0:1]
	v_mov_b32_e32 v3, s5
	v_add_co_u32_e32 v0, vcc, s4, v0
	v_addc_co_u32_e32 v1, vcc, v3, v1, vcc
	global_load_dwordx2 v[0:1], v[0:1], off
	v_ashrrev_i32_e32 v3, 31, v2
	v_lshlrev_b64 v[2:3], 3, v[2:3]
	v_mov_b32_e32 v4, s3
	v_add_co_u32_e32 v2, vcc, s2, v2
	v_addc_co_u32_e32 v3, vcc, v4, v3, vcc
	s_waitcnt vmcnt(0)
	global_store_dwordx2 v[2:3], v[0:1], off
.LBB27_2:
	s_endpgm
	.section	.rodata,"a",@progbits
	.p2align	6, 0x0
	.amdhsa_kernel _ZN9rocsolver6v33100L12restore_diagI19rocblas_complex_numIfEiS3_PKPS3_EEvPT1_llT2_lT0_lSA_
		.amdhsa_group_segment_fixed_size 0
		.amdhsa_private_segment_fixed_size 0
		.amdhsa_kernarg_size 320
		.amdhsa_user_sgpr_count 6
		.amdhsa_user_sgpr_private_segment_buffer 1
		.amdhsa_user_sgpr_dispatch_ptr 0
		.amdhsa_user_sgpr_queue_ptr 0
		.amdhsa_user_sgpr_kernarg_segment_ptr 1
		.amdhsa_user_sgpr_dispatch_id 0
		.amdhsa_user_sgpr_flat_scratch_init 0
		.amdhsa_user_sgpr_kernarg_preload_length 0
		.amdhsa_user_sgpr_kernarg_preload_offset 0
		.amdhsa_user_sgpr_private_segment_size 0
		.amdhsa_uses_dynamic_stack 0
		.amdhsa_system_sgpr_private_segment_wavefront_offset 0
		.amdhsa_system_sgpr_workgroup_id_x 1
		.amdhsa_system_sgpr_workgroup_id_y 1
		.amdhsa_system_sgpr_workgroup_id_z 0
		.amdhsa_system_sgpr_workgroup_info 0
		.amdhsa_system_vgpr_workitem_id 1
		.amdhsa_next_free_vgpr 5
		.amdhsa_next_free_sgpr 17
		.amdhsa_accum_offset 8
		.amdhsa_reserve_vcc 1
		.amdhsa_reserve_flat_scratch 0
		.amdhsa_float_round_mode_32 0
		.amdhsa_float_round_mode_16_64 0
		.amdhsa_float_denorm_mode_32 3
		.amdhsa_float_denorm_mode_16_64 3
		.amdhsa_dx10_clamp 1
		.amdhsa_ieee_mode 1
		.amdhsa_fp16_overflow 0
		.amdhsa_tg_split 0
		.amdhsa_exception_fp_ieee_invalid_op 0
		.amdhsa_exception_fp_denorm_src 0
		.amdhsa_exception_fp_ieee_div_zero 0
		.amdhsa_exception_fp_ieee_overflow 0
		.amdhsa_exception_fp_ieee_underflow 0
		.amdhsa_exception_fp_ieee_inexact 0
		.amdhsa_exception_int_div_zero 0
	.end_amdhsa_kernel
	.section	.text._ZN9rocsolver6v33100L12restore_diagI19rocblas_complex_numIfEiS3_PKPS3_EEvPT1_llT2_lT0_lSA_,"axG",@progbits,_ZN9rocsolver6v33100L12restore_diagI19rocblas_complex_numIfEiS3_PKPS3_EEvPT1_llT2_lT0_lSA_,comdat
.Lfunc_end27:
	.size	_ZN9rocsolver6v33100L12restore_diagI19rocblas_complex_numIfEiS3_PKPS3_EEvPT1_llT2_lT0_lSA_, .Lfunc_end27-_ZN9rocsolver6v33100L12restore_diagI19rocblas_complex_numIfEiS3_PKPS3_EEvPT1_llT2_lT0_lSA_
                                        ; -- End function
	.section	.AMDGPU.csdata,"",@progbits
; Kernel info:
; codeLenInByte = 248
; NumSgprs: 21
; NumVgprs: 5
; NumAgprs: 0
; TotalNumVgprs: 5
; ScratchSize: 0
; MemoryBound: 0
; FloatMode: 240
; IeeeMode: 1
; LDSByteSize: 0 bytes/workgroup (compile time only)
; SGPRBlocks: 2
; VGPRBlocks: 0
; NumSGPRsForWavesPerEU: 21
; NumVGPRsForWavesPerEU: 5
; AccumOffset: 8
; Occupancy: 8
; WaveLimiterHint : 1
; COMPUTE_PGM_RSRC2:SCRATCH_EN: 0
; COMPUTE_PGM_RSRC2:USER_SGPR: 6
; COMPUTE_PGM_RSRC2:TRAP_HANDLER: 0
; COMPUTE_PGM_RSRC2:TGID_X_EN: 1
; COMPUTE_PGM_RSRC2:TGID_Y_EN: 1
; COMPUTE_PGM_RSRC2:TGID_Z_EN: 0
; COMPUTE_PGM_RSRC2:TIDIG_COMP_CNT: 1
; COMPUTE_PGM_RSRC3_GFX90A:ACCUM_OFFSET: 1
; COMPUTE_PGM_RSRC3_GFX90A:TG_SPLIT: 0
	.section	.text._ZN9rocsolver6v33100L6iota_nI19rocblas_complex_numIdEEEvPT_jS4_,"axG",@progbits,_ZN9rocsolver6v33100L6iota_nI19rocblas_complex_numIdEEEvPT_jS4_,comdat
	.globl	_ZN9rocsolver6v33100L6iota_nI19rocblas_complex_numIdEEEvPT_jS4_ ; -- Begin function _ZN9rocsolver6v33100L6iota_nI19rocblas_complex_numIdEEEvPT_jS4_
	.p2align	8
	.type	_ZN9rocsolver6v33100L6iota_nI19rocblas_complex_numIdEEEvPT_jS4_,@function
_ZN9rocsolver6v33100L6iota_nI19rocblas_complex_numIdEEEvPT_jS4_: ; @_ZN9rocsolver6v33100L6iota_nI19rocblas_complex_numIdEEEvPT_jS4_
; %bb.0:
	s_load_dword s0, s[4:5], 0x8
	s_waitcnt lgkmcnt(0)
	v_cmp_gt_u32_e32 vcc, s0, v0
	s_and_saveexec_b64 s[0:1], vcc
	s_cbranch_execz .LBB28_2
; %bb.1:
	s_load_dwordx4 s[0:3], s[4:5], 0x10
	s_load_dwordx2 s[6:7], s[4:5], 0x0
	v_lshlrev_b32_e32 v4, 4, v0
	v_cvt_f64_u32_e32 v[0:1], v0
	s_waitcnt lgkmcnt(0)
	v_add_f64 v[2:3], s[2:3], 0
	v_add_f64 v[0:1], s[0:1], v[0:1]
	global_store_dwordx4 v4, v[0:3], s[6:7]
.LBB28_2:
	s_endpgm
	.section	.rodata,"a",@progbits
	.p2align	6, 0x0
	.amdhsa_kernel _ZN9rocsolver6v33100L6iota_nI19rocblas_complex_numIdEEEvPT_jS4_
		.amdhsa_group_segment_fixed_size 0
		.amdhsa_private_segment_fixed_size 0
		.amdhsa_kernarg_size 32
		.amdhsa_user_sgpr_count 6
		.amdhsa_user_sgpr_private_segment_buffer 1
		.amdhsa_user_sgpr_dispatch_ptr 0
		.amdhsa_user_sgpr_queue_ptr 0
		.amdhsa_user_sgpr_kernarg_segment_ptr 1
		.amdhsa_user_sgpr_dispatch_id 0
		.amdhsa_user_sgpr_flat_scratch_init 0
		.amdhsa_user_sgpr_kernarg_preload_length 0
		.amdhsa_user_sgpr_kernarg_preload_offset 0
		.amdhsa_user_sgpr_private_segment_size 0
		.amdhsa_uses_dynamic_stack 0
		.amdhsa_system_sgpr_private_segment_wavefront_offset 0
		.amdhsa_system_sgpr_workgroup_id_x 1
		.amdhsa_system_sgpr_workgroup_id_y 0
		.amdhsa_system_sgpr_workgroup_id_z 0
		.amdhsa_system_sgpr_workgroup_info 0
		.amdhsa_system_vgpr_workitem_id 0
		.amdhsa_next_free_vgpr 5
		.amdhsa_next_free_sgpr 8
		.amdhsa_accum_offset 8
		.amdhsa_reserve_vcc 1
		.amdhsa_reserve_flat_scratch 0
		.amdhsa_float_round_mode_32 0
		.amdhsa_float_round_mode_16_64 0
		.amdhsa_float_denorm_mode_32 3
		.amdhsa_float_denorm_mode_16_64 3
		.amdhsa_dx10_clamp 1
		.amdhsa_ieee_mode 1
		.amdhsa_fp16_overflow 0
		.amdhsa_tg_split 0
		.amdhsa_exception_fp_ieee_invalid_op 0
		.amdhsa_exception_fp_denorm_src 0
		.amdhsa_exception_fp_ieee_div_zero 0
		.amdhsa_exception_fp_ieee_overflow 0
		.amdhsa_exception_fp_ieee_underflow 0
		.amdhsa_exception_fp_ieee_inexact 0
		.amdhsa_exception_int_div_zero 0
	.end_amdhsa_kernel
	.section	.text._ZN9rocsolver6v33100L6iota_nI19rocblas_complex_numIdEEEvPT_jS4_,"axG",@progbits,_ZN9rocsolver6v33100L6iota_nI19rocblas_complex_numIdEEEvPT_jS4_,comdat
.Lfunc_end28:
	.size	_ZN9rocsolver6v33100L6iota_nI19rocblas_complex_numIdEEEvPT_jS4_, .Lfunc_end28-_ZN9rocsolver6v33100L6iota_nI19rocblas_complex_numIdEEEvPT_jS4_
                                        ; -- End function
	.section	.AMDGPU.csdata,"",@progbits
; Kernel info:
; codeLenInByte = 80
; NumSgprs: 12
; NumVgprs: 5
; NumAgprs: 0
; TotalNumVgprs: 5
; ScratchSize: 0
; MemoryBound: 0
; FloatMode: 240
; IeeeMode: 1
; LDSByteSize: 0 bytes/workgroup (compile time only)
; SGPRBlocks: 1
; VGPRBlocks: 0
; NumSGPRsForWavesPerEU: 12
; NumVGPRsForWavesPerEU: 5
; AccumOffset: 8
; Occupancy: 8
; WaveLimiterHint : 0
; COMPUTE_PGM_RSRC2:SCRATCH_EN: 0
; COMPUTE_PGM_RSRC2:USER_SGPR: 6
; COMPUTE_PGM_RSRC2:TRAP_HANDLER: 0
; COMPUTE_PGM_RSRC2:TGID_X_EN: 1
; COMPUTE_PGM_RSRC2:TGID_Y_EN: 0
; COMPUTE_PGM_RSRC2:TGID_Z_EN: 0
; COMPUTE_PGM_RSRC2:TIDIG_COMP_CNT: 0
; COMPUTE_PGM_RSRC3_GFX90A:ACCUM_OFFSET: 1
; COMPUTE_PGM_RSRC3_GFX90A:TG_SPLIT: 0
	.section	.text._ZN9rocsolver6v33100L16reset_batch_infoI19rocblas_complex_numIdEiiPS3_EEvT2_lT0_T1_,"axG",@progbits,_ZN9rocsolver6v33100L16reset_batch_infoI19rocblas_complex_numIdEiiPS3_EEvT2_lT0_T1_,comdat
	.globl	_ZN9rocsolver6v33100L16reset_batch_infoI19rocblas_complex_numIdEiiPS3_EEvT2_lT0_T1_ ; -- Begin function _ZN9rocsolver6v33100L16reset_batch_infoI19rocblas_complex_numIdEiiPS3_EEvT2_lT0_T1_
	.p2align	8
	.type	_ZN9rocsolver6v33100L16reset_batch_infoI19rocblas_complex_numIdEiiPS3_EEvT2_lT0_T1_,@function
_ZN9rocsolver6v33100L16reset_batch_infoI19rocblas_complex_numIdEiiPS3_EEvT2_lT0_T1_: ; @_ZN9rocsolver6v33100L16reset_batch_infoI19rocblas_complex_numIdEiiPS3_EEvT2_lT0_T1_
; %bb.0:
	s_load_dword s2, s[4:5], 0x24
	s_load_dwordx2 s[0:1], s[4:5], 0x10
	s_waitcnt lgkmcnt(0)
	s_and_b32 s2, s2, 0xffff
	s_mul_i32 s6, s6, s2
	v_add_u32_e32 v0, s6, v0
	v_cmp_gt_i32_e32 vcc, s0, v0
	s_and_saveexec_b64 s[2:3], vcc
	s_cbranch_execz .LBB29_2
; %bb.1:
	s_load_dwordx4 s[8:11], s[4:5], 0x0
	s_ashr_i32 s0, s7, 31
	v_ashrrev_i32_e32 v1, 31, v0
	v_lshlrev_b64 v[0:1], 4, v[0:1]
	s_waitcnt lgkmcnt(0)
	s_mul_i32 s3, s7, s11
	s_mul_hi_u32 s4, s7, s10
	s_mul_i32 s0, s0, s10
	s_add_i32 s3, s4, s3
	s_mul_i32 s2, s7, s10
	s_add_i32 s3, s3, s0
	s_lshl_b64 s[2:3], s[2:3], 4
	s_add_u32 s0, s8, s2
	s_addc_u32 s2, s9, s3
	v_mov_b32_e32 v2, s2
	v_add_co_u32_e32 v4, vcc, s0, v0
	v_addc_co_u32_e32 v5, vcc, v2, v1, vcc
	v_mov_b32_e32 v2, 0
	v_cvt_f64_i32_e32 v[0:1], s1
	v_mov_b32_e32 v3, v2
	global_store_dwordx4 v[4:5], v[0:3], off
.LBB29_2:
	s_endpgm
	.section	.rodata,"a",@progbits
	.p2align	6, 0x0
	.amdhsa_kernel _ZN9rocsolver6v33100L16reset_batch_infoI19rocblas_complex_numIdEiiPS3_EEvT2_lT0_T1_
		.amdhsa_group_segment_fixed_size 0
		.amdhsa_private_segment_fixed_size 0
		.amdhsa_kernarg_size 280
		.amdhsa_user_sgpr_count 6
		.amdhsa_user_sgpr_private_segment_buffer 1
		.amdhsa_user_sgpr_dispatch_ptr 0
		.amdhsa_user_sgpr_queue_ptr 0
		.amdhsa_user_sgpr_kernarg_segment_ptr 1
		.amdhsa_user_sgpr_dispatch_id 0
		.amdhsa_user_sgpr_flat_scratch_init 0
		.amdhsa_user_sgpr_kernarg_preload_length 0
		.amdhsa_user_sgpr_kernarg_preload_offset 0
		.amdhsa_user_sgpr_private_segment_size 0
		.amdhsa_uses_dynamic_stack 0
		.amdhsa_system_sgpr_private_segment_wavefront_offset 0
		.amdhsa_system_sgpr_workgroup_id_x 1
		.amdhsa_system_sgpr_workgroup_id_y 1
		.amdhsa_system_sgpr_workgroup_id_z 0
		.amdhsa_system_sgpr_workgroup_info 0
		.amdhsa_system_vgpr_workitem_id 0
		.amdhsa_next_free_vgpr 6
		.amdhsa_next_free_sgpr 12
		.amdhsa_accum_offset 8
		.amdhsa_reserve_vcc 1
		.amdhsa_reserve_flat_scratch 0
		.amdhsa_float_round_mode_32 0
		.amdhsa_float_round_mode_16_64 0
		.amdhsa_float_denorm_mode_32 3
		.amdhsa_float_denorm_mode_16_64 3
		.amdhsa_dx10_clamp 1
		.amdhsa_ieee_mode 1
		.amdhsa_fp16_overflow 0
		.amdhsa_tg_split 0
		.amdhsa_exception_fp_ieee_invalid_op 0
		.amdhsa_exception_fp_denorm_src 0
		.amdhsa_exception_fp_ieee_div_zero 0
		.amdhsa_exception_fp_ieee_overflow 0
		.amdhsa_exception_fp_ieee_underflow 0
		.amdhsa_exception_fp_ieee_inexact 0
		.amdhsa_exception_int_div_zero 0
	.end_amdhsa_kernel
	.section	.text._ZN9rocsolver6v33100L16reset_batch_infoI19rocblas_complex_numIdEiiPS3_EEvT2_lT0_T1_,"axG",@progbits,_ZN9rocsolver6v33100L16reset_batch_infoI19rocblas_complex_numIdEiiPS3_EEvT2_lT0_T1_,comdat
.Lfunc_end29:
	.size	_ZN9rocsolver6v33100L16reset_batch_infoI19rocblas_complex_numIdEiiPS3_EEvT2_lT0_T1_, .Lfunc_end29-_ZN9rocsolver6v33100L16reset_batch_infoI19rocblas_complex_numIdEiiPS3_EEvT2_lT0_T1_
                                        ; -- End function
	.section	.AMDGPU.csdata,"",@progbits
; Kernel info:
; codeLenInByte = 148
; NumSgprs: 16
; NumVgprs: 6
; NumAgprs: 0
; TotalNumVgprs: 6
; ScratchSize: 0
; MemoryBound: 0
; FloatMode: 240
; IeeeMode: 1
; LDSByteSize: 0 bytes/workgroup (compile time only)
; SGPRBlocks: 1
; VGPRBlocks: 0
; NumSGPRsForWavesPerEU: 16
; NumVGPRsForWavesPerEU: 6
; AccumOffset: 8
; Occupancy: 8
; WaveLimiterHint : 0
; COMPUTE_PGM_RSRC2:SCRATCH_EN: 0
; COMPUTE_PGM_RSRC2:USER_SGPR: 6
; COMPUTE_PGM_RSRC2:TRAP_HANDLER: 0
; COMPUTE_PGM_RSRC2:TGID_X_EN: 1
; COMPUTE_PGM_RSRC2:TGID_Y_EN: 1
; COMPUTE_PGM_RSRC2:TGID_Z_EN: 0
; COMPUTE_PGM_RSRC2:TIDIG_COMP_CNT: 0
; COMPUTE_PGM_RSRC3_GFX90A:ACCUM_OFFSET: 1
; COMPUTE_PGM_RSRC3_GFX90A:TG_SPLIT: 0
	.section	.text._ZN9rocsolver6v33100L8set_diagI19rocblas_complex_numIdEidPKPS3_TnNSt9enable_ifIXaa18rocblas_is_complexIT_Ent18rocblas_is_complexIT1_EEiE4typeELi0EEEvPS9_llT2_lT0_lSE_b,"axG",@progbits,_ZN9rocsolver6v33100L8set_diagI19rocblas_complex_numIdEidPKPS3_TnNSt9enable_ifIXaa18rocblas_is_complexIT_Ent18rocblas_is_complexIT1_EEiE4typeELi0EEEvPS9_llT2_lT0_lSE_b,comdat
	.globl	_ZN9rocsolver6v33100L8set_diagI19rocblas_complex_numIdEidPKPS3_TnNSt9enable_ifIXaa18rocblas_is_complexIT_Ent18rocblas_is_complexIT1_EEiE4typeELi0EEEvPS9_llT2_lT0_lSE_b ; -- Begin function _ZN9rocsolver6v33100L8set_diagI19rocblas_complex_numIdEidPKPS3_TnNSt9enable_ifIXaa18rocblas_is_complexIT_Ent18rocblas_is_complexIT1_EEiE4typeELi0EEEvPS9_llT2_lT0_lSE_b
	.p2align	8
	.type	_ZN9rocsolver6v33100L8set_diagI19rocblas_complex_numIdEidPKPS3_TnNSt9enable_ifIXaa18rocblas_is_complexIT_Ent18rocblas_is_complexIT1_EEiE4typeELi0EEEvPS9_llT2_lT0_lSE_b,@function
_ZN9rocsolver6v33100L8set_diagI19rocblas_complex_numIdEidPKPS3_TnNSt9enable_ifIXaa18rocblas_is_complexIT_Ent18rocblas_is_complexIT1_EEiE4typeELi0EEEvPS9_llT2_lT0_lSE_b: ; @_ZN9rocsolver6v33100L8set_diagI19rocblas_complex_numIdEidPKPS3_TnNSt9enable_ifIXaa18rocblas_is_complexIT_Ent18rocblas_is_complexIT1_EEiE4typeELi0EEEvPS9_llT2_lT0_lSE_b
; %bb.0:
	s_load_dword s2, s[4:5], 0x4c
	s_load_dwordx2 s[0:1], s[4:5], 0x38
	v_bfe_u32 v0, v0, 10, 10
	s_waitcnt lgkmcnt(0)
	s_lshr_b32 s2, s2, 16
	s_mul_i32 s7, s7, s2
	v_add_u32_e32 v2, s7, v0
	v_cmp_gt_i32_e32 vcc, s0, v2
	s_and_saveexec_b64 s[2:3], vcc
	s_cbranch_execz .LBB30_5
; %bb.1:
	s_load_dwordx8 s[8:15], s[4:5], 0x0
	s_bitcmp1_b32 s1, 0
	s_cselect_b64 s[0:1], -1, 0
	s_ashr_i32 s7, s6, 31
	s_lshl_b64 s[2:3], s[6:7], 3
	s_waitcnt lgkmcnt(0)
	s_add_u32 s2, s14, s2
	s_addc_u32 s3, s15, s3
	s_load_dwordx2 s[14:15], s[4:5], 0x20
	s_load_dwordx2 s[16:17], s[2:3], 0x0
	s_load_dword s18, s[4:5], 0x28
	s_waitcnt lgkmcnt(0)
	s_lshl_b64 s[2:3], s[14:15], 4
	s_add_u32 s4, s16, s2
	s_addc_u32 s5, s17, s3
	v_mad_u64_u32 v[0:1], s[2:3], v2, s18, v[2:3]
	v_ashrrev_i32_e32 v1, 31, v0
	v_lshlrev_b64 v[0:1], 4, v[0:1]
	v_mov_b32_e32 v3, s5
	v_add_co_u32_e32 v4, vcc, s4, v0
	v_addc_co_u32_e32 v5, vcc, v3, v1, vcc
	global_load_dwordx2 v[0:1], v[4:5], off
	s_mul_i32 s3, s6, s13
	s_mul_hi_u32 s4, s6, s12
	s_mul_i32 s5, s7, s12
	s_add_i32 s3, s4, s3
	s_mul_i32 s2, s6, s12
	s_add_i32 s3, s3, s5
	s_lshl_b64 s[2:3], s[2:3], 3
	s_add_u32 s4, s8, s2
	s_addc_u32 s5, s9, s3
	s_lshl_b64 s[2:3], s[10:11], 3
	v_ashrrev_i32_e32 v3, 31, v2
	s_add_u32 s2, s4, s2
	v_lshlrev_b64 v[2:3], 3, v[2:3]
	s_addc_u32 s3, s5, s3
	s_and_b64 vcc, exec, s[0:1]
	v_mov_b32_e32 v6, s3
	v_add_co_u32_e64 v2, s[0:1], s2, v2
	v_addc_co_u32_e64 v3, s[0:1], v6, v3, s[0:1]
	s_waitcnt vmcnt(0)
	global_store_dwordx2 v[2:3], v[0:1], off
	s_cbranch_vccnz .LBB30_3
; %bb.2:
	global_load_dwordx2 v[2:3], v[4:5], off offset:8
	s_branch .LBB30_4
.LBB30_3:
	v_mov_b32_e32 v0, 0
	v_pk_mov_b32 v[2:3], 0, 0
	v_mov_b32_e32 v1, 0x3ff00000
.LBB30_4:
	s_waitcnt vmcnt(0)
	global_store_dwordx4 v[4:5], v[0:3], off
.LBB30_5:
	s_endpgm
	.section	.rodata,"a",@progbits
	.p2align	6, 0x0
	.amdhsa_kernel _ZN9rocsolver6v33100L8set_diagI19rocblas_complex_numIdEidPKPS3_TnNSt9enable_ifIXaa18rocblas_is_complexIT_Ent18rocblas_is_complexIT1_EEiE4typeELi0EEEvPS9_llT2_lT0_lSE_b
		.amdhsa_group_segment_fixed_size 0
		.amdhsa_private_segment_fixed_size 0
		.amdhsa_kernarg_size 320
		.amdhsa_user_sgpr_count 6
		.amdhsa_user_sgpr_private_segment_buffer 1
		.amdhsa_user_sgpr_dispatch_ptr 0
		.amdhsa_user_sgpr_queue_ptr 0
		.amdhsa_user_sgpr_kernarg_segment_ptr 1
		.amdhsa_user_sgpr_dispatch_id 0
		.amdhsa_user_sgpr_flat_scratch_init 0
		.amdhsa_user_sgpr_kernarg_preload_length 0
		.amdhsa_user_sgpr_kernarg_preload_offset 0
		.amdhsa_user_sgpr_private_segment_size 0
		.amdhsa_uses_dynamic_stack 0
		.amdhsa_system_sgpr_private_segment_wavefront_offset 0
		.amdhsa_system_sgpr_workgroup_id_x 1
		.amdhsa_system_sgpr_workgroup_id_y 1
		.amdhsa_system_sgpr_workgroup_id_z 0
		.amdhsa_system_sgpr_workgroup_info 0
		.amdhsa_system_vgpr_workitem_id 1
		.amdhsa_next_free_vgpr 7
		.amdhsa_next_free_sgpr 19
		.amdhsa_accum_offset 8
		.amdhsa_reserve_vcc 1
		.amdhsa_reserve_flat_scratch 0
		.amdhsa_float_round_mode_32 0
		.amdhsa_float_round_mode_16_64 0
		.amdhsa_float_denorm_mode_32 3
		.amdhsa_float_denorm_mode_16_64 3
		.amdhsa_dx10_clamp 1
		.amdhsa_ieee_mode 1
		.amdhsa_fp16_overflow 0
		.amdhsa_tg_split 0
		.amdhsa_exception_fp_ieee_invalid_op 0
		.amdhsa_exception_fp_denorm_src 0
		.amdhsa_exception_fp_ieee_div_zero 0
		.amdhsa_exception_fp_ieee_overflow 0
		.amdhsa_exception_fp_ieee_underflow 0
		.amdhsa_exception_fp_ieee_inexact 0
		.amdhsa_exception_int_div_zero 0
	.end_amdhsa_kernel
	.section	.text._ZN9rocsolver6v33100L8set_diagI19rocblas_complex_numIdEidPKPS3_TnNSt9enable_ifIXaa18rocblas_is_complexIT_Ent18rocblas_is_complexIT1_EEiE4typeELi0EEEvPS9_llT2_lT0_lSE_b,"axG",@progbits,_ZN9rocsolver6v33100L8set_diagI19rocblas_complex_numIdEidPKPS3_TnNSt9enable_ifIXaa18rocblas_is_complexIT_Ent18rocblas_is_complexIT1_EEiE4typeELi0EEEvPS9_llT2_lT0_lSE_b,comdat
.Lfunc_end30:
	.size	_ZN9rocsolver6v33100L8set_diagI19rocblas_complex_numIdEidPKPS3_TnNSt9enable_ifIXaa18rocblas_is_complexIT_Ent18rocblas_is_complexIT1_EEiE4typeELi0EEEvPS9_llT2_lT0_lSE_b, .Lfunc_end30-_ZN9rocsolver6v33100L8set_diagI19rocblas_complex_numIdEidPKPS3_TnNSt9enable_ifIXaa18rocblas_is_complexIT_Ent18rocblas_is_complexIT1_EEiE4typeELi0EEEvPS9_llT2_lT0_lSE_b
                                        ; -- End function
	.section	.AMDGPU.csdata,"",@progbits
; Kernel info:
; codeLenInByte = 316
; NumSgprs: 23
; NumVgprs: 7
; NumAgprs: 0
; TotalNumVgprs: 7
; ScratchSize: 0
; MemoryBound: 0
; FloatMode: 240
; IeeeMode: 1
; LDSByteSize: 0 bytes/workgroup (compile time only)
; SGPRBlocks: 2
; VGPRBlocks: 0
; NumSGPRsForWavesPerEU: 23
; NumVGPRsForWavesPerEU: 7
; AccumOffset: 8
; Occupancy: 8
; WaveLimiterHint : 1
; COMPUTE_PGM_RSRC2:SCRATCH_EN: 0
; COMPUTE_PGM_RSRC2:USER_SGPR: 6
; COMPUTE_PGM_RSRC2:TRAP_HANDLER: 0
; COMPUTE_PGM_RSRC2:TGID_X_EN: 1
; COMPUTE_PGM_RSRC2:TGID_Y_EN: 1
; COMPUTE_PGM_RSRC2:TGID_Z_EN: 0
; COMPUTE_PGM_RSRC2:TIDIG_COMP_CNT: 1
; COMPUTE_PGM_RSRC3_GFX90A:ACCUM_OFFSET: 1
; COMPUTE_PGM_RSRC3_GFX90A:TG_SPLIT: 0
	.section	.text._ZN9rocsolver6v33100L11set_taubetaI19rocblas_complex_numIdEidPKPS3_EEvPT_lS8_T2_llPT1_ll,"axG",@progbits,_ZN9rocsolver6v33100L11set_taubetaI19rocblas_complex_numIdEidPKPS3_EEvPT_lS8_T2_llPT1_ll,comdat
	.globl	_ZN9rocsolver6v33100L11set_taubetaI19rocblas_complex_numIdEidPKPS3_EEvPT_lS8_T2_llPT1_ll ; -- Begin function _ZN9rocsolver6v33100L11set_taubetaI19rocblas_complex_numIdEidPKPS3_EEvPT_lS8_T2_llPT1_ll
	.p2align	8
	.type	_ZN9rocsolver6v33100L11set_taubetaI19rocblas_complex_numIdEidPKPS3_EEvPT_lS8_T2_llPT1_ll,@function
_ZN9rocsolver6v33100L11set_taubetaI19rocblas_complex_numIdEidPKPS3_EEvPT_lS8_T2_llPT1_ll: ; @_ZN9rocsolver6v33100L11set_taubetaI19rocblas_complex_numIdEidPKPS3_EEvPT_lS8_T2_llPT1_ll
; %bb.0:
	s_load_dwordx8 s[8:15], s[4:5], 0x0
	s_load_dwordx2 s[18:19], s[4:5], 0x20
	s_load_dwordx4 s[0:3], s[4:5], 0x30
	s_ashr_i32 s7, s6, 31
	s_lshl_b64 s[16:17], s[6:7], 3
	s_waitcnt lgkmcnt(0)
	s_add_u32 s14, s14, s16
	s_addc_u32 s15, s15, s17
	s_load_dwordx2 s[20:21], s[14:15], 0x0
	s_mov_b64 s[16:17], 0
	s_cmp_eq_u64 s[0:1], 0
	s_mov_b64 s[14:15], 0
	s_cbranch_scc1 .LBB31_2
; %bb.1:
	s_load_dwordx2 s[4:5], s[4:5], 0x40
	s_waitcnt lgkmcnt(0)
	s_mul_i32 s5, s6, s5
	s_mul_hi_u32 s14, s6, s4
	s_mul_i32 s15, s7, s4
	s_add_i32 s5, s14, s5
	s_mul_i32 s4, s6, s4
	s_add_i32 s5, s5, s15
	s_lshl_b64 s[4:5], s[4:5], 3
	s_add_u32 s4, s0, s4
	s_addc_u32 s5, s1, s5
	s_lshl_b64 s[0:1], s[2:3], 3
	s_add_u32 s14, s4, s0
	s_addc_u32 s15, s5, s1
.LBB31_2:
	s_lshl_b64 s[0:1], s[18:19], 4
	s_waitcnt lgkmcnt(0)
	s_add_u32 s0, s20, s0
	s_mul_i32 s2, s6, s11
	s_mul_hi_u32 s3, s6, s10
	s_addc_u32 s1, s21, s1
	s_add_i32 s2, s3, s2
	s_mul_i32 s3, s7, s10
	s_add_i32 s3, s2, s3
	s_mul_i32 s2, s6, s10
	s_lshl_b64 s[2:3], s[2:3], 4
	s_add_u32 s4, s8, s2
	s_addc_u32 s5, s9, s3
	s_lshl_b64 s[2:3], s[6:7], 4
	s_add_u32 s8, s12, s2
	s_addc_u32 s9, s13, s3
	s_load_dwordx2 s[10:11], s[0:1], 0x8
	s_load_dwordx2 s[12:13], s[8:9], 0x0
	s_cmp_eq_u64 s[14:15], 0
	s_cselect_b64 s[2:3], -1, 0
	s_cmp_lg_u64 s[14:15], 0
	s_waitcnt lgkmcnt(0)
	v_mul_f64 v[4:5], s[10:11], s[10:11]
	v_max_f64 v[0:1], s[12:13], s[12:13]
	v_max_f64 v[0:1], v[0:1], v[4:5]
	v_cmp_nlt_f64_e32 vcc, 0, v[0:1]
	s_cselect_b64 s[6:7], -1, 0
	s_cbranch_vccz .LBB31_6
; %bb.3:
	v_mov_b32_e32 v0, 0
	v_mov_b32_e32 v1, 0x3ff00000
	;; [unrolled: 1-line block ×4, first 2 shown]
	global_store_dwordx4 v0, v[0:3], s[8:9]
	s_mov_b64 s[18:19], 0
	v_mov_b32_e32 v1, v0
	s_and_b64 vcc, exec, s[6:7]
	global_store_dwordx4 v0, v[0:3], s[4:5]
	s_cbranch_vccz .LBB31_7
; %bb.4:
	global_load_dwordx2 v[0:1], v0, s[0:1]
	s_mov_b64 s[16:17], -1
	s_and_b64 vcc, exec, s[18:19]
	s_cbranch_vccnz .LBB31_8
.LBB31_5:
	s_mov_b64 s[2:3], 0
	s_andn2_b64 vcc, exec, s[16:17]
	s_cbranch_vccz .LBB31_9
	s_branch .LBB31_10
.LBB31_6:
	s_mov_b64 s[18:19], -1
.LBB31_7:
                                        ; implicit-def: $vgpr0_vgpr1
	s_and_b64 vcc, exec, s[18:19]
	s_cbranch_vccz .LBB31_5
.LBB31_8:
	s_load_dwordx2 s[16:17], s[0:1], 0x0
	s_mov_b32 s18, 0
	s_brev_b32 s19, 8
	s_waitcnt vmcnt(0) lgkmcnt(0)
	v_fma_f64 v[0:1], s[16:17], s[16:17], v[4:5]
	v_add_f64 v[0:1], s[12:13], v[0:1]
	v_cmp_gt_f64_e32 vcc, s[18:19], v[0:1]
	v_cndmask_b32_e64 v2, 0, 1, vcc
	v_lshlrev_b32_e32 v2, 8, v2
	v_ldexp_f64 v[0:1], v[0:1], v2
	v_rsq_f64_e32 v[2:3], v[0:1]
	s_and_b64 s[12:13], vcc, exec
	s_cselect_b32 s12, 0xffffff80, 0
	v_mul_f64 v[6:7], v[0:1], v[2:3]
	v_mul_f64 v[2:3], v[2:3], 0.5
	v_fma_f64 v[8:9], -v[2:3], v[6:7], 0.5
	v_fmac_f64_e32 v[6:7], v[6:7], v[8:9]
	v_fmac_f64_e32 v[2:3], v[2:3], v[8:9]
	v_fma_f64 v[8:9], -v[6:7], v[6:7], v[0:1]
	v_fmac_f64_e32 v[6:7], v[8:9], v[2:3]
	v_fma_f64 v[8:9], -v[6:7], v[6:7], v[0:1]
	v_fmac_f64_e32 v[6:7], v[8:9], v[2:3]
	v_ldexp_f64 v[2:3], v[6:7], s12
	v_mov_b32_e32 v6, 0x260
	v_cmp_class_f64_e32 vcc, v[0:1], v6
	v_cndmask_b32_e32 v1, v3, v1, vcc
	v_cndmask_b32_e32 v0, v2, v0, vcc
	v_xor_b32_e32 v2, 0x80000000, v1
	v_cmp_ge_f64_e64 vcc, s[16:17], 0
	v_cndmask_b32_e32 v1, v1, v2, vcc
	v_add_f64 v[2:3], s[16:17], -v[0:1]
	v_fmac_f64_e32 v[4:5], v[2:3], v[2:3]
	v_div_scale_f64 v[6:7], s[12:13], v[4:5], v[4:5], v[2:3]
	v_rcp_f64_e32 v[8:9], v[6:7]
	v_fma_f64 v[10:11], -v[6:7], v[8:9], 1.0
	v_fmac_f64_e32 v[8:9], v[8:9], v[10:11]
	v_fma_f64 v[10:11], -v[6:7], v[8:9], 1.0
	v_fmac_f64_e32 v[8:9], v[8:9], v[10:11]
	v_div_scale_f64 v[10:11], vcc, v[2:3], v[4:5], v[2:3]
	v_mul_f64 v[12:13], v[10:11], v[8:9]
	v_fma_f64 v[6:7], -v[6:7], v[12:13], v[10:11]
	v_div_scale_f64 v[10:11], s[12:13], v[4:5], v[4:5], -s[10:11]
	v_rcp_f64_e32 v[14:15], v[10:11]
	v_div_fmas_f64 v[6:7], v[6:7], v[8:9], v[12:13]
	v_div_fixup_f64 v[2:3], v[6:7], v[4:5], v[2:3]
	v_fma_f64 v[6:7], -v[10:11], v[14:15], 1.0
	v_fmac_f64_e32 v[14:15], v[14:15], v[6:7]
	v_fma_f64 v[6:7], -v[10:11], v[14:15], 1.0
	v_fmac_f64_e32 v[14:15], v[14:15], v[6:7]
	v_div_scale_f64 v[6:7], vcc, -s[10:11], v[4:5], -s[10:11]
	v_mul_f64 v[8:9], v[6:7], v[14:15]
	v_fma_f64 v[6:7], -v[10:11], v[8:9], v[6:7]
	s_nop 1
	v_div_fmas_f64 v[6:7], v[6:7], v[14:15], v[8:9]
	v_add_f64 v[8:9], v[0:1], -s[16:17]
	v_div_scale_f64 v[10:11], s[12:13], v[0:1], v[0:1], v[8:9]
	v_rcp_f64_e32 v[12:13], v[10:11]
	v_div_fixup_f64 v[4:5], v[6:7], v[4:5], -s[10:11]
	v_mov_b32_e32 v14, 0
	global_store_dwordx4 v14, v[2:5], s[8:9]
	v_div_scale_f64 v[6:7], s[8:9], v[0:1], v[0:1], -s[10:11]
	v_fma_f64 v[2:3], -v[10:11], v[12:13], 1.0
	v_fmac_f64_e32 v[12:13], v[12:13], v[2:3]
	v_fma_f64 v[2:3], -v[10:11], v[12:13], 1.0
	v_fmac_f64_e32 v[12:13], v[12:13], v[2:3]
	v_div_scale_f64 v[2:3], vcc, v[8:9], v[0:1], v[8:9]
	v_mul_f64 v[4:5], v[2:3], v[12:13]
	v_fma_f64 v[2:3], -v[10:11], v[4:5], v[2:3]
	v_rcp_f64_e32 v[10:11], v[6:7]
	s_nop 0
	v_div_fmas_f64 v[2:3], v[2:3], v[12:13], v[4:5]
	v_div_fixup_f64 v[2:3], v[2:3], v[0:1], v[8:9]
	s_mov_b64 s[16:17], s[6:7]
	v_fma_f64 v[4:5], -v[6:7], v[10:11], 1.0
	v_fmac_f64_e32 v[10:11], v[10:11], v[4:5]
	v_fma_f64 v[4:5], -v[6:7], v[10:11], 1.0
	v_fmac_f64_e32 v[10:11], v[10:11], v[4:5]
	v_div_scale_f64 v[4:5], vcc, -s[10:11], v[0:1], -s[10:11]
	v_mul_f64 v[8:9], v[4:5], v[10:11]
	v_fma_f64 v[4:5], -v[6:7], v[8:9], v[4:5]
	s_nop 1
	v_div_fmas_f64 v[4:5], v[4:5], v[10:11], v[8:9]
	v_div_fixup_f64 v[4:5], v[4:5], v[0:1], -s[10:11]
	global_store_dwordx4 v14, v[2:5], s[4:5]
	s_andn2_b64 vcc, exec, s[16:17]
	s_cbranch_vccnz .LBB31_10
.LBB31_9:
	v_pk_mov_b32 v[2:3], s[14:15], s[14:15] op_sel:[0,1]
	s_waitcnt vmcnt(0)
	flat_store_dwordx2 v[2:3], v[0:1]
	v_mov_b32_e32 v0, 0
	s_mov_b64 s[2:3], -1
	v_mov_b32_e32 v1, 0x3ff00000
.LBB31_10:
	s_andn2_b64 vcc, exec, s[2:3]
	s_cbranch_vccz .LBB31_12
; %bb.11:
	s_endpgm
.LBB31_12:
	v_mov_b32_e32 v2, 0
	v_mov_b32_e32 v3, v2
	s_waitcnt vmcnt(0) lgkmcnt(0)
	global_store_dwordx4 v2, v[0:3], s[0:1]
	s_endpgm
	.section	.rodata,"a",@progbits
	.p2align	6, 0x0
	.amdhsa_kernel _ZN9rocsolver6v33100L11set_taubetaI19rocblas_complex_numIdEidPKPS3_EEvPT_lS8_T2_llPT1_ll
		.amdhsa_group_segment_fixed_size 0
		.amdhsa_private_segment_fixed_size 0
		.amdhsa_kernarg_size 72
		.amdhsa_user_sgpr_count 6
		.amdhsa_user_sgpr_private_segment_buffer 1
		.amdhsa_user_sgpr_dispatch_ptr 0
		.amdhsa_user_sgpr_queue_ptr 0
		.amdhsa_user_sgpr_kernarg_segment_ptr 1
		.amdhsa_user_sgpr_dispatch_id 0
		.amdhsa_user_sgpr_flat_scratch_init 0
		.amdhsa_user_sgpr_kernarg_preload_length 0
		.amdhsa_user_sgpr_kernarg_preload_offset 0
		.amdhsa_user_sgpr_private_segment_size 0
		.amdhsa_uses_dynamic_stack 0
		.amdhsa_system_sgpr_private_segment_wavefront_offset 0
		.amdhsa_system_sgpr_workgroup_id_x 1
		.amdhsa_system_sgpr_workgroup_id_y 0
		.amdhsa_system_sgpr_workgroup_id_z 0
		.amdhsa_system_sgpr_workgroup_info 0
		.amdhsa_system_vgpr_workitem_id 0
		.amdhsa_next_free_vgpr 16
		.amdhsa_next_free_sgpr 22
		.amdhsa_accum_offset 16
		.amdhsa_reserve_vcc 1
		.amdhsa_reserve_flat_scratch 0
		.amdhsa_float_round_mode_32 0
		.amdhsa_float_round_mode_16_64 0
		.amdhsa_float_denorm_mode_32 3
		.amdhsa_float_denorm_mode_16_64 3
		.amdhsa_dx10_clamp 1
		.amdhsa_ieee_mode 1
		.amdhsa_fp16_overflow 0
		.amdhsa_tg_split 0
		.amdhsa_exception_fp_ieee_invalid_op 0
		.amdhsa_exception_fp_denorm_src 0
		.amdhsa_exception_fp_ieee_div_zero 0
		.amdhsa_exception_fp_ieee_overflow 0
		.amdhsa_exception_fp_ieee_underflow 0
		.amdhsa_exception_fp_ieee_inexact 0
		.amdhsa_exception_int_div_zero 0
	.end_amdhsa_kernel
	.section	.text._ZN9rocsolver6v33100L11set_taubetaI19rocblas_complex_numIdEidPKPS3_EEvPT_lS8_T2_llPT1_ll,"axG",@progbits,_ZN9rocsolver6v33100L11set_taubetaI19rocblas_complex_numIdEidPKPS3_EEvPT_lS8_T2_llPT1_ll,comdat
.Lfunc_end31:
	.size	_ZN9rocsolver6v33100L11set_taubetaI19rocblas_complex_numIdEidPKPS3_EEvPT_lS8_T2_llPT1_ll, .Lfunc_end31-_ZN9rocsolver6v33100L11set_taubetaI19rocblas_complex_numIdEidPKPS3_EEvPT_lS8_T2_llPT1_ll
                                        ; -- End function
	.section	.AMDGPU.csdata,"",@progbits
; Kernel info:
; codeLenInByte = 980
; NumSgprs: 26
; NumVgprs: 16
; NumAgprs: 0
; TotalNumVgprs: 16
; ScratchSize: 0
; MemoryBound: 0
; FloatMode: 240
; IeeeMode: 1
; LDSByteSize: 0 bytes/workgroup (compile time only)
; SGPRBlocks: 3
; VGPRBlocks: 1
; NumSGPRsForWavesPerEU: 26
; NumVGPRsForWavesPerEU: 16
; AccumOffset: 16
; Occupancy: 8
; WaveLimiterHint : 1
; COMPUTE_PGM_RSRC2:SCRATCH_EN: 0
; COMPUTE_PGM_RSRC2:USER_SGPR: 6
; COMPUTE_PGM_RSRC2:TRAP_HANDLER: 0
; COMPUTE_PGM_RSRC2:TGID_X_EN: 1
; COMPUTE_PGM_RSRC2:TGID_Y_EN: 0
; COMPUTE_PGM_RSRC2:TGID_Z_EN: 0
; COMPUTE_PGM_RSRC2:TIDIG_COMP_CNT: 0
; COMPUTE_PGM_RSRC3_GFX90A:ACCUM_OFFSET: 3
; COMPUTE_PGM_RSRC3_GFX90A:TG_SPLIT: 0
	.section	.text._ZN9rocsolver6v33100L8set_diagI19rocblas_complex_numIdEiS3_PKPS3_TnNSt9enable_ifIXoont18rocblas_is_complexIT_E18rocblas_is_complexIT1_EEiE4typeELi0EEEvPS9_llT2_lT0_lSE_b,"axG",@progbits,_ZN9rocsolver6v33100L8set_diagI19rocblas_complex_numIdEiS3_PKPS3_TnNSt9enable_ifIXoont18rocblas_is_complexIT_E18rocblas_is_complexIT1_EEiE4typeELi0EEEvPS9_llT2_lT0_lSE_b,comdat
	.globl	_ZN9rocsolver6v33100L8set_diagI19rocblas_complex_numIdEiS3_PKPS3_TnNSt9enable_ifIXoont18rocblas_is_complexIT_E18rocblas_is_complexIT1_EEiE4typeELi0EEEvPS9_llT2_lT0_lSE_b ; -- Begin function _ZN9rocsolver6v33100L8set_diagI19rocblas_complex_numIdEiS3_PKPS3_TnNSt9enable_ifIXoont18rocblas_is_complexIT_E18rocblas_is_complexIT1_EEiE4typeELi0EEEvPS9_llT2_lT0_lSE_b
	.p2align	8
	.type	_ZN9rocsolver6v33100L8set_diagI19rocblas_complex_numIdEiS3_PKPS3_TnNSt9enable_ifIXoont18rocblas_is_complexIT_E18rocblas_is_complexIT1_EEiE4typeELi0EEEvPS9_llT2_lT0_lSE_b,@function
_ZN9rocsolver6v33100L8set_diagI19rocblas_complex_numIdEiS3_PKPS3_TnNSt9enable_ifIXoont18rocblas_is_complexIT_E18rocblas_is_complexIT1_EEiE4typeELi0EEEvPS9_llT2_lT0_lSE_b: ; @_ZN9rocsolver6v33100L8set_diagI19rocblas_complex_numIdEiS3_PKPS3_TnNSt9enable_ifIXoont18rocblas_is_complexIT_E18rocblas_is_complexIT1_EEiE4typeELi0EEEvPS9_llT2_lT0_lSE_b
; %bb.0:
	s_load_dword s2, s[4:5], 0x4c
	s_load_dwordx2 s[0:1], s[4:5], 0x38
	v_bfe_u32 v0, v0, 10, 10
	s_waitcnt lgkmcnt(0)
	s_lshr_b32 s2, s2, 16
	s_mul_i32 s7, s7, s2
	v_add_u32_e32 v0, s7, v0
	v_cmp_gt_i32_e32 vcc, s0, v0
	s_and_saveexec_b64 s[2:3], vcc
	s_cbranch_execz .LBB32_5
; %bb.1:
	s_load_dwordx8 s[8:15], s[4:5], 0x0
	s_bitcmp1_b32 s1, 0
	s_cselect_b64 s[0:1], -1, 0
	s_ashr_i32 s7, s6, 31
	s_lshl_b64 s[2:3], s[6:7], 3
	s_waitcnt lgkmcnt(0)
	s_add_u32 s2, s14, s2
	s_addc_u32 s3, s15, s3
	s_load_dwordx2 s[14:15], s[4:5], 0x20
	s_load_dwordx2 s[16:17], s[2:3], 0x0
	s_load_dword s18, s[4:5], 0x28
	s_waitcnt lgkmcnt(0)
	s_lshl_b64 s[2:3], s[14:15], 4
	s_add_u32 s4, s16, s2
	s_addc_u32 s5, s17, s3
	v_mad_u64_u32 v[2:3], s[2:3], v0, s18, v[0:1]
	v_ashrrev_i32_e32 v3, 31, v2
	v_lshlrev_b64 v[2:3], 4, v[2:3]
	v_mov_b32_e32 v1, s5
	v_add_co_u32_e32 v4, vcc, s4, v2
	v_addc_co_u32_e32 v5, vcc, v1, v3, vcc
	global_load_dwordx4 v[6:9], v[4:5], off
	s_mul_i32 s3, s6, s13
	s_mul_hi_u32 s4, s6, s12
	s_mul_i32 s5, s7, s12
	s_add_i32 s3, s4, s3
	s_mul_i32 s2, s6, s12
	s_add_i32 s3, s3, s5
	s_lshl_b64 s[2:3], s[2:3], 4
	s_add_u32 s4, s8, s2
	s_addc_u32 s5, s9, s3
	s_lshl_b64 s[2:3], s[10:11], 4
	v_ashrrev_i32_e32 v1, 31, v0
	s_add_u32 s2, s4, s2
	v_lshlrev_b64 v[0:1], 4, v[0:1]
	s_addc_u32 s3, s5, s3
	s_and_b64 vcc, exec, s[0:1]
	v_mov_b32_e32 v2, s3
	v_add_co_u32_e64 v0, s[0:1], s2, v0
	v_addc_co_u32_e64 v1, s[0:1], v2, v1, s[0:1]
	s_waitcnt vmcnt(0)
	global_store_dwordx4 v[0:1], v[6:9], off
	s_cbranch_vccnz .LBB32_3
; %bb.2:
	global_load_dwordx4 v[0:3], v[4:5], off
	s_branch .LBB32_4
.LBB32_3:
	v_mov_b32_e32 v0, 0
	v_pk_mov_b32 v[2:3], 0, 0
	v_mov_b32_e32 v1, 0x3ff00000
.LBB32_4:
	s_waitcnt vmcnt(0)
	global_store_dwordx4 v[4:5], v[0:3], off
.LBB32_5:
	s_endpgm
	.section	.rodata,"a",@progbits
	.p2align	6, 0x0
	.amdhsa_kernel _ZN9rocsolver6v33100L8set_diagI19rocblas_complex_numIdEiS3_PKPS3_TnNSt9enable_ifIXoont18rocblas_is_complexIT_E18rocblas_is_complexIT1_EEiE4typeELi0EEEvPS9_llT2_lT0_lSE_b
		.amdhsa_group_segment_fixed_size 0
		.amdhsa_private_segment_fixed_size 0
		.amdhsa_kernarg_size 320
		.amdhsa_user_sgpr_count 6
		.amdhsa_user_sgpr_private_segment_buffer 1
		.amdhsa_user_sgpr_dispatch_ptr 0
		.amdhsa_user_sgpr_queue_ptr 0
		.amdhsa_user_sgpr_kernarg_segment_ptr 1
		.amdhsa_user_sgpr_dispatch_id 0
		.amdhsa_user_sgpr_flat_scratch_init 0
		.amdhsa_user_sgpr_kernarg_preload_length 0
		.amdhsa_user_sgpr_kernarg_preload_offset 0
		.amdhsa_user_sgpr_private_segment_size 0
		.amdhsa_uses_dynamic_stack 0
		.amdhsa_system_sgpr_private_segment_wavefront_offset 0
		.amdhsa_system_sgpr_workgroup_id_x 1
		.amdhsa_system_sgpr_workgroup_id_y 1
		.amdhsa_system_sgpr_workgroup_id_z 0
		.amdhsa_system_sgpr_workgroup_info 0
		.amdhsa_system_vgpr_workitem_id 1
		.amdhsa_next_free_vgpr 10
		.amdhsa_next_free_sgpr 19
		.amdhsa_accum_offset 12
		.amdhsa_reserve_vcc 1
		.amdhsa_reserve_flat_scratch 0
		.amdhsa_float_round_mode_32 0
		.amdhsa_float_round_mode_16_64 0
		.amdhsa_float_denorm_mode_32 3
		.amdhsa_float_denorm_mode_16_64 3
		.amdhsa_dx10_clamp 1
		.amdhsa_ieee_mode 1
		.amdhsa_fp16_overflow 0
		.amdhsa_tg_split 0
		.amdhsa_exception_fp_ieee_invalid_op 0
		.amdhsa_exception_fp_denorm_src 0
		.amdhsa_exception_fp_ieee_div_zero 0
		.amdhsa_exception_fp_ieee_overflow 0
		.amdhsa_exception_fp_ieee_underflow 0
		.amdhsa_exception_fp_ieee_inexact 0
		.amdhsa_exception_int_div_zero 0
	.end_amdhsa_kernel
	.section	.text._ZN9rocsolver6v33100L8set_diagI19rocblas_complex_numIdEiS3_PKPS3_TnNSt9enable_ifIXoont18rocblas_is_complexIT_E18rocblas_is_complexIT1_EEiE4typeELi0EEEvPS9_llT2_lT0_lSE_b,"axG",@progbits,_ZN9rocsolver6v33100L8set_diagI19rocblas_complex_numIdEiS3_PKPS3_TnNSt9enable_ifIXoont18rocblas_is_complexIT_E18rocblas_is_complexIT1_EEiE4typeELi0EEEvPS9_llT2_lT0_lSE_b,comdat
.Lfunc_end32:
	.size	_ZN9rocsolver6v33100L8set_diagI19rocblas_complex_numIdEiS3_PKPS3_TnNSt9enable_ifIXoont18rocblas_is_complexIT_E18rocblas_is_complexIT1_EEiE4typeELi0EEEvPS9_llT2_lT0_lSE_b, .Lfunc_end32-_ZN9rocsolver6v33100L8set_diagI19rocblas_complex_numIdEiS3_PKPS3_TnNSt9enable_ifIXoont18rocblas_is_complexIT_E18rocblas_is_complexIT1_EEiE4typeELi0EEEvPS9_llT2_lT0_lSE_b
                                        ; -- End function
	.section	.AMDGPU.csdata,"",@progbits
; Kernel info:
; codeLenInByte = 316
; NumSgprs: 23
; NumVgprs: 10
; NumAgprs: 0
; TotalNumVgprs: 10
; ScratchSize: 0
; MemoryBound: 1
; FloatMode: 240
; IeeeMode: 1
; LDSByteSize: 0 bytes/workgroup (compile time only)
; SGPRBlocks: 2
; VGPRBlocks: 1
; NumSGPRsForWavesPerEU: 23
; NumVGPRsForWavesPerEU: 10
; AccumOffset: 12
; Occupancy: 8
; WaveLimiterHint : 1
; COMPUTE_PGM_RSRC2:SCRATCH_EN: 0
; COMPUTE_PGM_RSRC2:USER_SGPR: 6
; COMPUTE_PGM_RSRC2:TRAP_HANDLER: 0
; COMPUTE_PGM_RSRC2:TGID_X_EN: 1
; COMPUTE_PGM_RSRC2:TGID_Y_EN: 1
; COMPUTE_PGM_RSRC2:TGID_Z_EN: 0
; COMPUTE_PGM_RSRC2:TIDIG_COMP_CNT: 1
; COMPUTE_PGM_RSRC3_GFX90A:ACCUM_OFFSET: 2
; COMPUTE_PGM_RSRC3_GFX90A:TG_SPLIT: 0
	.section	.text._ZN9rocsolver6v33100L13conj_in_placeI19rocblas_complex_numIdEiPS3_TnNSt9enable_ifIX18rocblas_is_complexIT_EEiE4typeELi0EEEvT0_S9_T1_lS9_l,"axG",@progbits,_ZN9rocsolver6v33100L13conj_in_placeI19rocblas_complex_numIdEiPS3_TnNSt9enable_ifIX18rocblas_is_complexIT_EEiE4typeELi0EEEvT0_S9_T1_lS9_l,comdat
	.globl	_ZN9rocsolver6v33100L13conj_in_placeI19rocblas_complex_numIdEiPS3_TnNSt9enable_ifIX18rocblas_is_complexIT_EEiE4typeELi0EEEvT0_S9_T1_lS9_l ; -- Begin function _ZN9rocsolver6v33100L13conj_in_placeI19rocblas_complex_numIdEiPS3_TnNSt9enable_ifIX18rocblas_is_complexIT_EEiE4typeELi0EEEvT0_S9_T1_lS9_l
	.p2align	8
	.type	_ZN9rocsolver6v33100L13conj_in_placeI19rocblas_complex_numIdEiPS3_TnNSt9enable_ifIX18rocblas_is_complexIT_EEiE4typeELi0EEEvT0_S9_T1_lS9_l,@function
_ZN9rocsolver6v33100L13conj_in_placeI19rocblas_complex_numIdEiPS3_TnNSt9enable_ifIX18rocblas_is_complexIT_EEiE4typeELi0EEEvT0_S9_T1_lS9_l: ; @_ZN9rocsolver6v33100L13conj_in_placeI19rocblas_complex_numIdEiPS3_TnNSt9enable_ifIX18rocblas_is_complexIT_EEiE4typeELi0EEEvT0_S9_T1_lS9_l
; %bb.0:
	s_load_dword s2, s[4:5], 0x34
	s_load_dwordx2 s[0:1], s[4:5], 0x0
	v_and_b32_e32 v1, 0x3ff, v0
	v_bfe_u32 v0, v0, 10, 10
	s_waitcnt lgkmcnt(0)
	s_lshr_b32 s3, s2, 16
	s_and_b32 s2, s2, 0xffff
	s_mul_i32 s6, s6, s2
	s_mul_i32 s7, s7, s3
	v_add_u32_e32 v2, s6, v1
	v_add_u32_e32 v0, s7, v0
	v_cmp_gt_i32_e32 vcc, s0, v2
	v_cmp_gt_i32_e64 s[0:1], s1, v0
	s_and_b64 s[0:1], vcc, s[0:1]
	s_and_saveexec_b64 s[2:3], s[0:1]
	s_cbranch_execz .LBB33_2
; %bb.1:
	s_load_dwordx2 s[6:7], s[4:5], 0x20
	s_load_dwordx4 s[0:3], s[4:5], 0x8
	s_load_dword s9, s[4:5], 0x18
	s_ashr_i32 s4, s8, 31
	v_ashrrev_i32_e32 v3, 31, v2
	s_waitcnt lgkmcnt(0)
	s_mul_i32 s5, s8, s7
	s_mul_hi_u32 s7, s8, s6
	s_add_i32 s5, s7, s5
	s_mul_i32 s4, s4, s6
	s_add_i32 s5, s5, s4
	s_mul_i32 s4, s8, s6
	s_lshl_b64 s[4:5], s[4:5], 4
	s_add_u32 s4, s0, s4
	s_addc_u32 s5, s1, s5
	s_lshl_b64 s[0:1], s[2:3], 4
	s_add_u32 s2, s4, s0
	s_addc_u32 s3, s5, s1
	v_mad_i64_i32 v[0:1], s[0:1], v0, s9, 0
	v_lshlrev_b64 v[4:5], 4, v[0:1]
	v_mov_b32_e32 v1, s3
	v_add_co_u32_e32 v6, vcc, s2, v4
	v_addc_co_u32_e32 v1, vcc, v1, v5, vcc
	v_lshlrev_b64 v[4:5], 4, v[2:3]
	v_add_co_u32_e32 v4, vcc, v6, v4
	v_addc_co_u32_e32 v5, vcc, v1, v5, vcc
	global_load_dwordx4 v[4:7], v[4:5], off
	v_add_u32_e32 v0, v0, v2
	v_ashrrev_i32_e32 v1, 31, v0
	v_lshlrev_b64 v[0:1], 4, v[0:1]
	v_mov_b32_e32 v2, s3
	v_add_co_u32_e32 v0, vcc, s2, v0
	v_addc_co_u32_e32 v1, vcc, v2, v1, vcc
	s_waitcnt vmcnt(0)
	v_xor_b32_e32 v7, 0x80000000, v7
	global_store_dwordx4 v[0:1], v[4:7], off
.LBB33_2:
	s_endpgm
	.section	.rodata,"a",@progbits
	.p2align	6, 0x0
	.amdhsa_kernel _ZN9rocsolver6v33100L13conj_in_placeI19rocblas_complex_numIdEiPS3_TnNSt9enable_ifIX18rocblas_is_complexIT_EEiE4typeELi0EEEvT0_S9_T1_lS9_l
		.amdhsa_group_segment_fixed_size 0
		.amdhsa_private_segment_fixed_size 0
		.amdhsa_kernarg_size 296
		.amdhsa_user_sgpr_count 6
		.amdhsa_user_sgpr_private_segment_buffer 1
		.amdhsa_user_sgpr_dispatch_ptr 0
		.amdhsa_user_sgpr_queue_ptr 0
		.amdhsa_user_sgpr_kernarg_segment_ptr 1
		.amdhsa_user_sgpr_dispatch_id 0
		.amdhsa_user_sgpr_flat_scratch_init 0
		.amdhsa_user_sgpr_kernarg_preload_length 0
		.amdhsa_user_sgpr_kernarg_preload_offset 0
		.amdhsa_user_sgpr_private_segment_size 0
		.amdhsa_uses_dynamic_stack 0
		.amdhsa_system_sgpr_private_segment_wavefront_offset 0
		.amdhsa_system_sgpr_workgroup_id_x 1
		.amdhsa_system_sgpr_workgroup_id_y 1
		.amdhsa_system_sgpr_workgroup_id_z 1
		.amdhsa_system_sgpr_workgroup_info 0
		.amdhsa_system_vgpr_workitem_id 1
		.amdhsa_next_free_vgpr 8
		.amdhsa_next_free_sgpr 10
		.amdhsa_accum_offset 8
		.amdhsa_reserve_vcc 1
		.amdhsa_reserve_flat_scratch 0
		.amdhsa_float_round_mode_32 0
		.amdhsa_float_round_mode_16_64 0
		.amdhsa_float_denorm_mode_32 3
		.amdhsa_float_denorm_mode_16_64 3
		.amdhsa_dx10_clamp 1
		.amdhsa_ieee_mode 1
		.amdhsa_fp16_overflow 0
		.amdhsa_tg_split 0
		.amdhsa_exception_fp_ieee_invalid_op 0
		.amdhsa_exception_fp_denorm_src 0
		.amdhsa_exception_fp_ieee_div_zero 0
		.amdhsa_exception_fp_ieee_overflow 0
		.amdhsa_exception_fp_ieee_underflow 0
		.amdhsa_exception_fp_ieee_inexact 0
		.amdhsa_exception_int_div_zero 0
	.end_amdhsa_kernel
	.section	.text._ZN9rocsolver6v33100L13conj_in_placeI19rocblas_complex_numIdEiPS3_TnNSt9enable_ifIX18rocblas_is_complexIT_EEiE4typeELi0EEEvT0_S9_T1_lS9_l,"axG",@progbits,_ZN9rocsolver6v33100L13conj_in_placeI19rocblas_complex_numIdEiPS3_TnNSt9enable_ifIX18rocblas_is_complexIT_EEiE4typeELi0EEEvT0_S9_T1_lS9_l,comdat
.Lfunc_end33:
	.size	_ZN9rocsolver6v33100L13conj_in_placeI19rocblas_complex_numIdEiPS3_TnNSt9enable_ifIX18rocblas_is_complexIT_EEiE4typeELi0EEEvT0_S9_T1_lS9_l, .Lfunc_end33-_ZN9rocsolver6v33100L13conj_in_placeI19rocblas_complex_numIdEiPS3_TnNSt9enable_ifIX18rocblas_is_complexIT_EEiE4typeELi0EEEvT0_S9_T1_lS9_l
                                        ; -- End function
	.section	.AMDGPU.csdata,"",@progbits
; Kernel info:
; codeLenInByte = 276
; NumSgprs: 14
; NumVgprs: 8
; NumAgprs: 0
; TotalNumVgprs: 8
; ScratchSize: 0
; MemoryBound: 0
; FloatMode: 240
; IeeeMode: 1
; LDSByteSize: 0 bytes/workgroup (compile time only)
; SGPRBlocks: 1
; VGPRBlocks: 0
; NumSGPRsForWavesPerEU: 14
; NumVGPRsForWavesPerEU: 8
; AccumOffset: 8
; Occupancy: 8
; WaveLimiterHint : 0
; COMPUTE_PGM_RSRC2:SCRATCH_EN: 0
; COMPUTE_PGM_RSRC2:USER_SGPR: 6
; COMPUTE_PGM_RSRC2:TRAP_HANDLER: 0
; COMPUTE_PGM_RSRC2:TGID_X_EN: 1
; COMPUTE_PGM_RSRC2:TGID_Y_EN: 1
; COMPUTE_PGM_RSRC2:TGID_Z_EN: 1
; COMPUTE_PGM_RSRC2:TIDIG_COMP_CNT: 1
; COMPUTE_PGM_RSRC3_GFX90A:ACCUM_OFFSET: 1
; COMPUTE_PGM_RSRC3_GFX90A:TG_SPLIT: 0
	.section	.text._ZN9rocsolver6v33100L16larf_left_kernelILi1024E19rocblas_complex_numIdEiPKPS3_EEvT1_S7_T2_lS7_lPKT0_lS8_lS7_l,"axG",@progbits,_ZN9rocsolver6v33100L16larf_left_kernelILi1024E19rocblas_complex_numIdEiPKPS3_EEvT1_S7_T2_lS7_lPKT0_lS8_lS7_l,comdat
	.globl	_ZN9rocsolver6v33100L16larf_left_kernelILi1024E19rocblas_complex_numIdEiPKPS3_EEvT1_S7_T2_lS7_lPKT0_lS8_lS7_l ; -- Begin function _ZN9rocsolver6v33100L16larf_left_kernelILi1024E19rocblas_complex_numIdEiPKPS3_EEvT1_S7_T2_lS7_lPKT0_lS8_lS7_l
	.p2align	8
	.type	_ZN9rocsolver6v33100L16larf_left_kernelILi1024E19rocblas_complex_numIdEiPKPS3_EEvT1_S7_T2_lS7_lPKT0_lS8_lS7_l,@function
_ZN9rocsolver6v33100L16larf_left_kernelILi1024E19rocblas_complex_numIdEiPKPS3_EEvT1_S7_T2_lS7_lPKT0_lS8_lS7_l: ; @_ZN9rocsolver6v33100L16larf_left_kernelILi1024E19rocblas_complex_numIdEiPKPS3_EEvT1_S7_T2_lS7_lPKT0_lS8_lS7_l
; %bb.0:
	s_load_dwordx8 s[12:19], s[4:5], 0x28
	s_load_dword s22, s[4:5], 0x0
	s_load_dword s6, s[4:5], 0x48
	s_ashr_i32 s9, s8, 31
	s_lshl_b64 s[20:21], s[8:9], 3
	s_waitcnt lgkmcnt(0)
	s_add_u32 s0, s16, s20
	s_addc_u32 s1, s17, s21
	s_load_dwordx2 s[2:3], s[0:1], 0x0
	v_pk_mov_b32 v[2:3], 0, 0
	v_cmp_gt_i32_e64 s[0:1], s22, v0
	s_mov_b64 s[16:17], 0
	s_mul_hi_i32 s11, s7, s6
	s_mul_i32 s10, s7, s6
	v_pk_mov_b32 v[4:5], v[2:3], v[2:3] op_sel:[0,1]
	s_and_saveexec_b64 s[6:7], s[0:1]
	s_cbranch_execz .LBB34_6
; %bb.1:
	s_load_dword s28, s[4:5], 0x18
	s_load_dwordx4 s[24:27], s[4:5], 0x8
	s_sub_i32 s4, 1, s22
	v_lshl_add_u32 v1, v0, 4, 0
	v_add_u32_e32 v1, 0x100, v1
	s_waitcnt lgkmcnt(0)
	s_ashr_i32 s29, s28, 31
	s_mul_i32 s23, s4, s28
	v_cmp_lt_i64_e64 s[4:5], s[28:29], 1
	s_and_b64 s[4:5], s[4:5], exec
	s_cselect_b32 s4, s23, 0
	s_ashr_i32 s5, s4, 31
	s_add_u32 s20, s24, s20
	s_addc_u32 s21, s25, s21
	s_load_dwordx2 s[20:21], s[20:21], 0x0
	v_mad_i64_i32 v[2:3], s[24:25], s28, v0, 0
	s_lshl_b64 s[24:25], s[26:27], 4
	s_lshl_b64 s[4:5], s[4:5], 4
	s_waitcnt lgkmcnt(0)
	s_add_u32 s4, s20, s4
	s_addc_u32 s5, s21, s5
	s_add_u32 s4, s4, s24
	v_lshlrev_b64 v[2:3], 4, v[2:3]
	s_addc_u32 s5, s5, s25
	v_mov_b32_e32 v4, s5
	v_add_co_u32_e32 v2, vcc, s4, v2
	s_lshl_b64 s[4:5], s[28:29], 14
	v_addc_co_u32_e32 v3, vcc, v4, v3, vcc
	v_mov_b32_e32 v4, s5
	v_mov_b32_e32 v5, v1
	;; [unrolled: 1-line block ×3, first 2 shown]
.LBB34_2:                               ; =>This Inner Loop Header: Depth=1
	global_load_dwordx4 v[8:11], v[2:3], off
	v_add_co_u32_e32 v2, vcc, s4, v2
	v_add_u32_e32 v6, 0x400, v6
	v_addc_co_u32_e32 v3, vcc, v3, v4, vcc
	v_cmp_le_i32_e32 vcc, s22, v6
	s_or_b64 s[16:17], vcc, s[16:17]
	s_waitcnt vmcnt(0)
	ds_write2_b64 v5, v[8:9], v[10:11] offset1:1
	v_add_u32_e32 v5, 0x4000, v5
	s_andn2_b64 exec, exec, s[16:17]
	s_cbranch_execnz .LBB34_2
; %bb.3:
	s_or_b64 exec, exec, s[16:17]
	s_lshl_b64 s[4:5], s[10:11], 4
	s_lshl_b64 s[16:17], s[18:19], 4
	s_add_u32 s4, s4, s16
	s_addc_u32 s5, s5, s17
	s_add_u32 s4, s2, s4
	v_lshlrev_b32_e32 v2, 4, v0
	s_addc_u32 s5, s3, s5
	v_mov_b32_e32 v3, s5
	v_add_co_u32_e32 v2, vcc, s4, v2
	v_addc_co_u32_e32 v3, vcc, 0, v3, vcc
	v_add_co_u32_e32 v6, vcc, 8, v2
	v_addc_co_u32_e32 v7, vcc, 0, v3, vcc
	v_pk_mov_b32 v[2:3], 0, 0
	s_mov_b64 s[4:5], 0
	v_mov_b32_e32 v8, v0
	v_pk_mov_b32 v[4:5], v[2:3], v[2:3] op_sel:[0,1]
.LBB34_4:                               ; =>This Inner Loop Header: Depth=1
	global_load_dwordx4 v[10:13], v[6:7], off offset:-8
	ds_read2_b64 v[14:17], v1 offset1:1
	v_add_co_u32_e32 v6, vcc, 0x4000, v6
	v_add_u32_e32 v8, 0x400, v8
	v_addc_co_u32_e32 v7, vcc, 0, v7, vcc
	v_cmp_le_i32_e32 vcc, s22, v8
	v_add_u32_e32 v1, 0x4000, v1
	s_or_b64 s[4:5], vcc, s[4:5]
	s_waitcnt vmcnt(0) lgkmcnt(0)
	v_mul_f64 v[18:19], v[12:13], v[16:17]
	v_mul_f64 v[12:13], v[12:13], v[14:15]
	v_fmac_f64_e32 v[18:19], v[10:11], v[14:15]
	v_fma_f64 v[10:11], v[10:11], v[16:17], -v[12:13]
	v_add_f64 v[4:5], v[4:5], v[18:19]
	v_add_f64 v[2:3], v[2:3], v[10:11]
	s_andn2_b64 exec, exec, s[4:5]
	s_cbranch_execnz .LBB34_4
; %bb.5:
	s_or_b64 exec, exec, s[4:5]
.LBB34_6:
	s_or_b64 exec, exec, s[6:7]
	v_mbcnt_lo_u32_b32 v1, -1, 0
	v_mbcnt_hi_u32_b32 v1, -1, v1
	v_and_b32_e32 v10, 63, v1
	v_cmp_ne_u32_e32 vcc, 63, v10
	v_addc_co_u32_e32 v6, vcc, 0, v1, vcc
	v_lshlrev_b32_e32 v9, 2, v6
	ds_bpermute_b32 v6, v9, v4
	ds_bpermute_b32 v7, v9, v5
	;; [unrolled: 1-line block ×4, first 2 shown]
	v_cmp_gt_u32_e32 vcc, 62, v10
	s_waitcnt lgkmcnt(0)
	v_add_f64 v[4:5], v[4:5], v[6:7]
	v_cndmask_b32_e64 v6, 0, 1, vcc
	v_lshlrev_b32_e32 v6, 1, v6
	v_add_f64 v[2:3], v[2:3], v[8:9]
	v_add_lshl_u32 v9, v6, v1, 2
	ds_bpermute_b32 v6, v9, v4
	ds_bpermute_b32 v7, v9, v5
	ds_bpermute_b32 v8, v9, v2
	ds_bpermute_b32 v9, v9, v3
	v_cmp_gt_u32_e32 vcc, 60, v10
	s_waitcnt lgkmcnt(2)
	v_add_f64 v[4:5], v[4:5], v[6:7]
	v_cndmask_b32_e64 v6, 0, 1, vcc
	v_lshlrev_b32_e32 v6, 2, v6
	s_waitcnt lgkmcnt(0)
	v_add_f64 v[2:3], v[2:3], v[8:9]
	v_add_lshl_u32 v9, v6, v1, 2
	ds_bpermute_b32 v6, v9, v4
	ds_bpermute_b32 v7, v9, v5
	ds_bpermute_b32 v8, v9, v2
	ds_bpermute_b32 v9, v9, v3
	v_cmp_gt_u32_e32 vcc, 56, v10
	s_waitcnt lgkmcnt(2)
	v_add_f64 v[4:5], v[4:5], v[6:7]
	v_cndmask_b32_e64 v6, 0, 1, vcc
	v_lshlrev_b32_e32 v6, 3, v6
	s_waitcnt lgkmcnt(0)
	;; [unrolled: 12-line block ×3, first 2 shown]
	v_add_f64 v[2:3], v[2:3], v[8:9]
	v_add_lshl_u32 v9, v6, v1, 2
	ds_bpermute_b32 v6, v9, v4
	ds_bpermute_b32 v7, v9, v5
	;; [unrolled: 1-line block ×4, first 2 shown]
	v_cmp_gt_u32_e32 vcc, 32, v10
	s_waitcnt lgkmcnt(2)
	v_add_f64 v[4:5], v[4:5], v[6:7]
	s_waitcnt lgkmcnt(0)
	v_add_f64 v[6:7], v[2:3], v[8:9]
	v_cndmask_b32_e64 v2, 0, 1, vcc
	v_lshlrev_b32_e32 v2, 5, v2
	v_add_lshl_u32 v1, v2, v1, 2
	ds_bpermute_b32 v2, v1, v4
	ds_bpermute_b32 v3, v1, v5
	;; [unrolled: 1-line block ×4, first 2 shown]
	v_and_b32_e32 v1, 63, v0
	v_cmp_eq_u32_e32 vcc, 0, v1
	s_waitcnt lgkmcnt(2)
	v_add_f64 v[2:3], v[4:5], v[2:3]
	s_waitcnt lgkmcnt(0)
	v_add_f64 v[4:5], v[6:7], v[8:9]
	s_and_saveexec_b64 s[4:5], vcc
	s_cbranch_execz .LBB34_8
; %bb.7:
	v_lshrrev_b32_e32 v1, 2, v0
	v_add_u32_e32 v1, 0, v1
	ds_write2_b64 v1, v[2:3], v[4:5] offset1:1
.LBB34_8:
	s_or_b64 exec, exec, s[4:5]
	v_cmp_eq_u32_e32 vcc, 0, v0
	s_waitcnt lgkmcnt(0)
	s_barrier
	s_and_saveexec_b64 s[4:5], vcc
	s_cbranch_execz .LBB34_10
; %bb.9:
	v_mov_b32_e32 v1, 0
	ds_read2_b64 v[6:9], v1 offset0:2 offset1:3
	ds_read2_b64 v[10:13], v1 offset0:4 offset1:5
	;; [unrolled: 1-line block ×4, first 2 shown]
	s_waitcnt lgkmcnt(3)
	v_add_f64 v[2:3], v[2:3], v[6:7]
	v_add_f64 v[4:5], v[4:5], v[8:9]
	s_waitcnt lgkmcnt(2)
	v_add_f64 v[2:3], v[2:3], v[10:11]
	v_add_f64 v[6:7], v[4:5], v[12:13]
	s_waitcnt lgkmcnt(1)
	v_add_f64 v[8:9], v[2:3], v[14:15]
	ds_read2_b64 v[2:5], v1 offset0:10 offset1:11
	v_add_f64 v[10:11], v[6:7], v[16:17]
	s_waitcnt lgkmcnt(1)
	v_add_f64 v[12:13], v[8:9], v[18:19]
	ds_read2_b64 v[6:9], v1 offset0:12 offset1:13
	;; [unrolled: 4-line block ×8, first 2 shown]
	v_add_f64 v[12:13], v[14:15], v[12:13]
	s_waitcnt lgkmcnt(1)
	v_add_f64 v[10:11], v[10:11], v[2:3]
	v_add_f64 v[14:15], v[12:13], v[4:5]
	ds_read2_b64 v[2:5], v1 offset0:26 offset1:27
	s_waitcnt lgkmcnt(1)
	v_add_f64 v[16:17], v[10:11], v[6:7]
	ds_read2_b64 v[10:13], v1 offset0:28 offset1:29
	v_add_f64 v[14:15], v[14:15], v[8:9]
	ds_read2_b64 v[6:9], v1 offset0:30 offset1:31
	s_waitcnt lgkmcnt(2)
	v_add_f64 v[2:3], v[16:17], v[2:3]
	v_add_f64 v[4:5], v[14:15], v[4:5]
	s_waitcnt lgkmcnt(1)
	v_add_f64 v[2:3], v[2:3], v[10:11]
	v_add_f64 v[4:5], v[4:5], v[12:13]
	;; [unrolled: 3-line block ×3, first 2 shown]
	ds_write2_b64 v1, v[2:3], v[4:5] offset1:1
.LBB34_10:
	s_or_b64 exec, exec, s[4:5]
	s_waitcnt lgkmcnt(0)
	s_barrier
	s_and_saveexec_b64 s[4:5], s[0:1]
	s_cbranch_execz .LBB34_13
; %bb.11:
	s_mul_i32 s0, s8, s15
	s_mul_hi_u32 s1, s8, s14
	s_add_i32 s0, s1, s0
	s_mul_i32 s1, s9, s14
	s_add_i32 s1, s0, s1
	s_mul_i32 s0, s8, s14
	s_lshl_b64 s[0:1], s[0:1], 4
	s_add_u32 s0, s12, s0
	s_addc_u32 s1, s13, s1
	v_mov_b32_e32 v1, 0
	s_load_dwordx4 s[4:7], s[0:1], 0x0
	ds_read2_b64 v[4:7], v1 offset1:1
	s_lshl_b64 s[0:1], s[10:11], 4
	s_waitcnt lgkmcnt(0)
	v_mul_f64 v[2:3], s[6:7], v[6:7]
	v_fma_f64 v[2:3], v[4:5], -s[4:5], -v[2:3]
	v_mul_f64 v[4:5], s[6:7], v[4:5]
	v_fma_f64 v[4:5], s[4:5], v[6:7], -v[4:5]
	s_lshl_b64 s[4:5], s[18:19], 4
	s_add_u32 s0, s0, s4
	s_addc_u32 s1, s1, s5
	s_add_u32 s0, s2, s0
	v_lshlrev_b32_e32 v6, 4, v0
	s_addc_u32 s1, s3, s1
	v_add_u32_e32 v1, 0, v6
	v_mov_b32_e32 v7, s1
	v_add_co_u32_e32 v6, vcc, s0, v6
	v_addc_co_u32_e32 v7, vcc, 0, v7, vcc
	v_add_co_u32_e32 v6, vcc, 8, v6
	v_add_u32_e32 v1, 0x100, v1
	v_addc_co_u32_e32 v7, vcc, 0, v7, vcc
	s_mov_b64 s[0:1], 0
.LBB34_12:                              ; =>This Inner Loop Header: Depth=1
	global_load_dwordx4 v[8:11], v[6:7], off offset:-8
	ds_read2_b64 v[12:15], v1 offset1:1
	v_add_u32_e32 v0, 0x400, v0
	v_cmp_le_i32_e32 vcc, s22, v0
	s_or_b64 s[0:1], vcc, s[0:1]
	v_add_u32_e32 v1, 0x4000, v1
	s_waitcnt lgkmcnt(0)
	v_mul_f64 v[16:17], v[4:5], v[14:15]
	v_mul_f64 v[14:15], v[2:3], v[14:15]
	v_fma_f64 v[16:17], v[2:3], v[12:13], -v[16:17]
	v_fmac_f64_e32 v[14:15], v[4:5], v[12:13]
	s_waitcnt vmcnt(0)
	v_add_f64 v[8:9], v[8:9], v[16:17]
	v_add_f64 v[10:11], v[10:11], v[14:15]
	global_store_dwordx4 v[6:7], v[8:11], off offset:-8
	v_add_co_u32_e32 v6, vcc, 0x4000, v6
	v_addc_co_u32_e32 v7, vcc, 0, v7, vcc
	s_andn2_b64 exec, exec, s[0:1]
	s_cbranch_execnz .LBB34_12
.LBB34_13:
	s_endpgm
	.section	.rodata,"a",@progbits
	.p2align	6, 0x0
	.amdhsa_kernel _ZN9rocsolver6v33100L16larf_left_kernelILi1024E19rocblas_complex_numIdEiPKPS3_EEvT1_S7_T2_lS7_lPKT0_lS8_lS7_l
		.amdhsa_group_segment_fixed_size 0
		.amdhsa_private_segment_fixed_size 0
		.amdhsa_kernarg_size 88
		.amdhsa_user_sgpr_count 6
		.amdhsa_user_sgpr_private_segment_buffer 1
		.amdhsa_user_sgpr_dispatch_ptr 0
		.amdhsa_user_sgpr_queue_ptr 0
		.amdhsa_user_sgpr_kernarg_segment_ptr 1
		.amdhsa_user_sgpr_dispatch_id 0
		.amdhsa_user_sgpr_flat_scratch_init 0
		.amdhsa_user_sgpr_kernarg_preload_length 0
		.amdhsa_user_sgpr_kernarg_preload_offset 0
		.amdhsa_user_sgpr_private_segment_size 0
		.amdhsa_uses_dynamic_stack 0
		.amdhsa_system_sgpr_private_segment_wavefront_offset 0
		.amdhsa_system_sgpr_workgroup_id_x 1
		.amdhsa_system_sgpr_workgroup_id_y 1
		.amdhsa_system_sgpr_workgroup_id_z 1
		.amdhsa_system_sgpr_workgroup_info 0
		.amdhsa_system_vgpr_workitem_id 0
		.amdhsa_next_free_vgpr 22
		.amdhsa_next_free_sgpr 30
		.amdhsa_accum_offset 24
		.amdhsa_reserve_vcc 1
		.amdhsa_reserve_flat_scratch 0
		.amdhsa_float_round_mode_32 0
		.amdhsa_float_round_mode_16_64 0
		.amdhsa_float_denorm_mode_32 3
		.amdhsa_float_denorm_mode_16_64 3
		.amdhsa_dx10_clamp 1
		.amdhsa_ieee_mode 1
		.amdhsa_fp16_overflow 0
		.amdhsa_tg_split 0
		.amdhsa_exception_fp_ieee_invalid_op 0
		.amdhsa_exception_fp_denorm_src 0
		.amdhsa_exception_fp_ieee_div_zero 0
		.amdhsa_exception_fp_ieee_overflow 0
		.amdhsa_exception_fp_ieee_underflow 0
		.amdhsa_exception_fp_ieee_inexact 0
		.amdhsa_exception_int_div_zero 0
	.end_amdhsa_kernel
	.section	.text._ZN9rocsolver6v33100L16larf_left_kernelILi1024E19rocblas_complex_numIdEiPKPS3_EEvT1_S7_T2_lS7_lPKT0_lS8_lS7_l,"axG",@progbits,_ZN9rocsolver6v33100L16larf_left_kernelILi1024E19rocblas_complex_numIdEiPKPS3_EEvT1_S7_T2_lS7_lPKT0_lS8_lS7_l,comdat
.Lfunc_end34:
	.size	_ZN9rocsolver6v33100L16larf_left_kernelILi1024E19rocblas_complex_numIdEiPKPS3_EEvT1_S7_T2_lS7_lPKT0_lS8_lS7_l, .Lfunc_end34-_ZN9rocsolver6v33100L16larf_left_kernelILi1024E19rocblas_complex_numIdEiPKPS3_EEvT1_S7_T2_lS7_lPKT0_lS8_lS7_l
                                        ; -- End function
	.section	.AMDGPU.csdata,"",@progbits
; Kernel info:
; codeLenInByte = 1776
; NumSgprs: 34
; NumVgprs: 22
; NumAgprs: 0
; TotalNumVgprs: 22
; ScratchSize: 0
; MemoryBound: 0
; FloatMode: 240
; IeeeMode: 1
; LDSByteSize: 0 bytes/workgroup (compile time only)
; SGPRBlocks: 4
; VGPRBlocks: 2
; NumSGPRsForWavesPerEU: 34
; NumVGPRsForWavesPerEU: 22
; AccumOffset: 24
; Occupancy: 8
; WaveLimiterHint : 0
; COMPUTE_PGM_RSRC2:SCRATCH_EN: 0
; COMPUTE_PGM_RSRC2:USER_SGPR: 6
; COMPUTE_PGM_RSRC2:TRAP_HANDLER: 0
; COMPUTE_PGM_RSRC2:TGID_X_EN: 1
; COMPUTE_PGM_RSRC2:TGID_Y_EN: 1
; COMPUTE_PGM_RSRC2:TGID_Z_EN: 1
; COMPUTE_PGM_RSRC2:TIDIG_COMP_CNT: 0
; COMPUTE_PGM_RSRC3_GFX90A:ACCUM_OFFSET: 5
; COMPUTE_PGM_RSRC3_GFX90A:TG_SPLIT: 0
	.section	.text._ZN9rocsolver6v33100L17larf_right_kernelILi1024E19rocblas_complex_numIdEiPKPS3_EEvT1_S7_T2_lS7_lPKT0_lS8_lS7_l,"axG",@progbits,_ZN9rocsolver6v33100L17larf_right_kernelILi1024E19rocblas_complex_numIdEiPKPS3_EEvT1_S7_T2_lS7_lPKT0_lS8_lS7_l,comdat
	.globl	_ZN9rocsolver6v33100L17larf_right_kernelILi1024E19rocblas_complex_numIdEiPKPS3_EEvT1_S7_T2_lS7_lPKT0_lS8_lS7_l ; -- Begin function _ZN9rocsolver6v33100L17larf_right_kernelILi1024E19rocblas_complex_numIdEiPKPS3_EEvT1_S7_T2_lS7_lPKT0_lS8_lS7_l
	.p2align	8
	.type	_ZN9rocsolver6v33100L17larf_right_kernelILi1024E19rocblas_complex_numIdEiPKPS3_EEvT1_S7_T2_lS7_lPKT0_lS8_lS7_l,@function
_ZN9rocsolver6v33100L17larf_right_kernelILi1024E19rocblas_complex_numIdEiPKPS3_EEvT1_S7_T2_lS7_lPKT0_lS8_lS7_l: ; @_ZN9rocsolver6v33100L17larf_right_kernelILi1024E19rocblas_complex_numIdEiPKPS3_EEvT1_S7_T2_lS7_lPKT0_lS8_lS7_l
; %bb.0:
	s_load_dwordx8 s[12:19], s[4:5], 0x28
	s_load_dword s22, s[4:5], 0x4
	s_load_dword s2, s[4:5], 0x48
	s_ashr_i32 s9, s8, 31
	s_lshl_b64 s[0:1], s[8:9], 3
	s_waitcnt lgkmcnt(0)
	s_add_u32 s10, s16, s0
	s_addc_u32 s11, s17, s1
	s_load_dwordx2 s[10:11], s[10:11], 0x0
	v_pk_mov_b32 v[2:3], 0, 0
	s_mov_b32 s6, s7
	s_ashr_i32 s7, s7, 31
	v_cmp_gt_i32_e32 vcc, s22, v0
	s_mov_b64 s[20:21], 0
	v_lshl_add_u32 v1, v0, 4, 0
	v_pk_mov_b32 v[4:5], v[2:3], v[2:3] op_sel:[0,1]
	s_and_saveexec_b64 s[16:17], vcc
	s_cbranch_execz .LBB35_6
; %bb.1:
	s_load_dword s28, s[4:5], 0x18
	s_load_dwordx4 s[24:27], s[4:5], 0x8
	s_sub_i32 s3, 1, s22
	v_add_u32_e32 v8, 0x100, v1
	v_mov_b32_e32 v5, v8
	s_waitcnt lgkmcnt(0)
	s_ashr_i32 s29, s28, 31
	v_cmp_lt_i64_e64 s[4:5], s[28:29], 1
	s_mul_i32 s3, s3, s28
	s_and_b64 s[4:5], s[4:5], exec
	s_cselect_b32 s4, s3, 0
	s_ashr_i32 s5, s4, 31
	s_add_u32 s0, s24, s0
	s_addc_u32 s1, s25, s1
	s_load_dwordx2 s[0:1], s[0:1], 0x0
	v_mad_i64_i32 v[2:3], s[24:25], s28, v0, 0
	s_lshl_b64 s[24:25], s[26:27], 4
	s_lshl_b64 s[4:5], s[4:5], 4
	s_waitcnt lgkmcnt(0)
	s_add_u32 s0, s0, s4
	s_addc_u32 s1, s1, s5
	s_add_u32 s0, s0, s24
	v_lshlrev_b64 v[2:3], 4, v[2:3]
	s_addc_u32 s1, s1, s25
	v_mov_b32_e32 v4, s1
	v_add_co_u32_e64 v2, s[0:1], s0, v2
	s_lshl_b64 s[4:5], s[28:29], 14
	v_addc_co_u32_e64 v3, s[0:1], v4, v3, s[0:1]
	v_mov_b32_e32 v4, s5
	v_mov_b32_e32 v6, v0
.LBB35_2:                               ; =>This Inner Loop Header: Depth=1
	global_load_dwordx4 v[10:13], v[2:3], off
	v_add_co_u32_e64 v2, s[0:1], s4, v2
	v_add_u32_e32 v6, 0x400, v6
	v_addc_co_u32_e64 v3, s[0:1], v3, v4, s[0:1]
	v_cmp_le_i32_e64 s[0:1], s22, v6
	s_or_b64 s[20:21], s[0:1], s[20:21]
	s_waitcnt vmcnt(0)
	ds_write2_b64 v5, v[10:11], v[12:13] offset1:1
	v_add_u32_e32 v5, 0x4000, v5
	s_andn2_b64 exec, exec, s[20:21]
	s_cbranch_execnz .LBB35_2
; %bb.3:
	s_or_b64 exec, exec, s[20:21]
	v_mad_i64_i32 v[2:3], s[0:1], s2, v0, 0
	s_ashr_i32 s3, s2, 31
	s_lshl_b64 s[0:1], s[18:19], 4
	s_lshl_b64 s[4:5], s[6:7], 4
	s_add_u32 s4, s10, s4
	s_addc_u32 s5, s11, s5
	s_add_u32 s0, s4, s0
	v_lshlrev_b64 v[2:3], 4, v[2:3]
	s_addc_u32 s1, s5, s1
	v_mov_b32_e32 v4, s1
	v_add_co_u32_e64 v2, s[0:1], s0, v2
	v_addc_co_u32_e64 v3, s[0:1], v4, v3, s[0:1]
	v_add_co_u32_e64 v6, s[0:1], 8, v2
	v_addc_co_u32_e64 v7, s[0:1], 0, v3, s[0:1]
	s_lshl_b64 s[20:21], s[2:3], 14
	v_pk_mov_b32 v[2:3], 0, 0
	s_mov_b64 s[4:5], 0
	v_mov_b32_e32 v9, s21
	v_mov_b32_e32 v10, v0
	v_pk_mov_b32 v[4:5], v[2:3], v[2:3] op_sel:[0,1]
.LBB35_4:                               ; =>This Inner Loop Header: Depth=1
	global_load_dwordx4 v[12:15], v[6:7], off offset:-8
	ds_read2_b64 v[16:19], v8 offset1:1
	v_add_co_u32_e64 v6, s[0:1], s20, v6
	v_add_u32_e32 v10, 0x400, v10
	v_addc_co_u32_e64 v7, s[0:1], v7, v9, s[0:1]
	v_cmp_le_i32_e64 s[0:1], s22, v10
	v_add_u32_e32 v8, 0x4000, v8
	s_or_b64 s[4:5], s[0:1], s[4:5]
	s_waitcnt vmcnt(0) lgkmcnt(0)
	v_mul_f64 v[20:21], v[18:19], v[14:15]
	v_mul_f64 v[14:15], v[16:17], v[14:15]
	v_fma_f64 v[16:17], v[16:17], v[12:13], -v[20:21]
	v_fmac_f64_e32 v[14:15], v[18:19], v[12:13]
	v_add_f64 v[4:5], v[4:5], v[16:17]
	v_add_f64 v[2:3], v[2:3], v[14:15]
	s_andn2_b64 exec, exec, s[4:5]
	s_cbranch_execnz .LBB35_4
; %bb.5:
	s_or_b64 exec, exec, s[4:5]
.LBB35_6:
	s_or_b64 exec, exec, s[16:17]
	v_mbcnt_lo_u32_b32 v6, -1, 0
	v_mbcnt_hi_u32_b32 v10, -1, v6
	v_and_b32_e32 v11, 63, v10
	v_cmp_ne_u32_e64 s[0:1], 63, v11
	v_addc_co_u32_e64 v6, s[0:1], 0, v10, s[0:1]
	v_lshlrev_b32_e32 v9, 2, v6
	ds_bpermute_b32 v6, v9, v4
	ds_bpermute_b32 v7, v9, v5
	;; [unrolled: 1-line block ×4, first 2 shown]
	v_cmp_gt_u32_e64 s[0:1], 62, v11
	s_waitcnt lgkmcnt(0)
	v_add_f64 v[4:5], v[4:5], v[6:7]
	v_cndmask_b32_e64 v6, 0, 1, s[0:1]
	v_lshlrev_b32_e32 v6, 1, v6
	v_add_f64 v[2:3], v[2:3], v[8:9]
	v_add_lshl_u32 v9, v6, v10, 2
	ds_bpermute_b32 v6, v9, v4
	ds_bpermute_b32 v7, v9, v5
	ds_bpermute_b32 v8, v9, v2
	ds_bpermute_b32 v9, v9, v3
	v_cmp_gt_u32_e64 s[0:1], 60, v11
	s_waitcnt lgkmcnt(2)
	v_add_f64 v[4:5], v[4:5], v[6:7]
	v_cndmask_b32_e64 v6, 0, 1, s[0:1]
	v_lshlrev_b32_e32 v6, 2, v6
	s_waitcnt lgkmcnt(0)
	v_add_f64 v[2:3], v[2:3], v[8:9]
	v_add_lshl_u32 v9, v6, v10, 2
	ds_bpermute_b32 v6, v9, v4
	ds_bpermute_b32 v7, v9, v5
	ds_bpermute_b32 v8, v9, v2
	ds_bpermute_b32 v9, v9, v3
	v_cmp_gt_u32_e64 s[0:1], 56, v11
	s_waitcnt lgkmcnt(2)
	v_add_f64 v[4:5], v[4:5], v[6:7]
	v_cndmask_b32_e64 v6, 0, 1, s[0:1]
	v_lshlrev_b32_e32 v6, 3, v6
	s_waitcnt lgkmcnt(0)
	;; [unrolled: 12-line block ×3, first 2 shown]
	v_add_f64 v[2:3], v[2:3], v[8:9]
	v_add_lshl_u32 v9, v6, v10, 2
	ds_bpermute_b32 v6, v9, v4
	ds_bpermute_b32 v7, v9, v5
	;; [unrolled: 1-line block ×4, first 2 shown]
	v_cmp_gt_u32_e64 s[0:1], 32, v11
	s_waitcnt lgkmcnt(2)
	v_add_f64 v[4:5], v[4:5], v[6:7]
	s_waitcnt lgkmcnt(0)
	v_add_f64 v[6:7], v[2:3], v[8:9]
	v_cndmask_b32_e64 v2, 0, 1, s[0:1]
	v_lshlrev_b32_e32 v2, 5, v2
	v_add_lshl_u32 v9, v2, v10, 2
	ds_bpermute_b32 v2, v9, v4
	ds_bpermute_b32 v3, v9, v5
	;; [unrolled: 1-line block ×4, first 2 shown]
	s_waitcnt lgkmcnt(2)
	v_add_f64 v[2:3], v[4:5], v[2:3]
	s_waitcnt lgkmcnt(0)
	v_add_f64 v[4:5], v[6:7], v[8:9]
	v_and_b32_e32 v6, 63, v0
	v_cmp_eq_u32_e64 s[0:1], 0, v6
	s_and_saveexec_b64 s[4:5], s[0:1]
	s_cbranch_execz .LBB35_8
; %bb.7:
	v_lshrrev_b32_e32 v6, 2, v0
	v_add_u32_e32 v6, 0, v6
	ds_write2_b64 v6, v[2:3], v[4:5] offset1:1
.LBB35_8:
	s_or_b64 exec, exec, s[4:5]
	v_cmp_eq_u32_e64 s[0:1], 0, v0
	s_waitcnt lgkmcnt(0)
	s_barrier
	s_and_saveexec_b64 s[4:5], s[0:1]
	s_cbranch_execz .LBB35_10
; %bb.9:
	v_mov_b32_e32 v22, 0
	ds_read2_b64 v[6:9], v22 offset0:2 offset1:3
	ds_read2_b64 v[10:13], v22 offset0:4 offset1:5
	;; [unrolled: 1-line block ×4, first 2 shown]
	s_waitcnt lgkmcnt(3)
	v_add_f64 v[2:3], v[2:3], v[6:7]
	v_add_f64 v[4:5], v[4:5], v[8:9]
	s_waitcnt lgkmcnt(2)
	v_add_f64 v[2:3], v[2:3], v[10:11]
	v_add_f64 v[6:7], v[4:5], v[12:13]
	s_waitcnt lgkmcnt(1)
	v_add_f64 v[8:9], v[2:3], v[14:15]
	ds_read2_b64 v[2:5], v22 offset0:10 offset1:11
	v_add_f64 v[10:11], v[6:7], v[16:17]
	s_waitcnt lgkmcnt(1)
	v_add_f64 v[12:13], v[8:9], v[18:19]
	ds_read2_b64 v[6:9], v22 offset0:12 offset1:13
	v_add_f64 v[14:15], v[10:11], v[20:21]
	s_waitcnt lgkmcnt(1)
	v_add_f64 v[2:3], v[12:13], v[2:3]
	ds_read2_b64 v[10:13], v22 offset0:14 offset1:15
	v_add_f64 v[14:15], v[14:15], v[4:5]
	s_waitcnt lgkmcnt(1)
	v_add_f64 v[6:7], v[2:3], v[6:7]
	ds_read2_b64 v[2:5], v22 offset0:16 offset1:17
	v_add_f64 v[14:15], v[14:15], v[8:9]
	s_waitcnt lgkmcnt(1)
	v_add_f64 v[10:11], v[6:7], v[10:11]
	ds_read2_b64 v[6:9], v22 offset0:18 offset1:19
	v_add_f64 v[14:15], v[14:15], v[12:13]
	s_waitcnt lgkmcnt(1)
	v_add_f64 v[2:3], v[10:11], v[2:3]
	ds_read2_b64 v[10:13], v22 offset0:20 offset1:21
	v_add_f64 v[14:15], v[14:15], v[4:5]
	s_waitcnt lgkmcnt(1)
	v_add_f64 v[6:7], v[2:3], v[6:7]
	ds_read2_b64 v[2:5], v22 offset0:22 offset1:23
	v_add_f64 v[14:15], v[14:15], v[8:9]
	s_waitcnt lgkmcnt(1)
	v_add_f64 v[10:11], v[6:7], v[10:11]
	ds_read2_b64 v[6:9], v22 offset0:24 offset1:25
	v_add_f64 v[12:13], v[14:15], v[12:13]
	s_waitcnt lgkmcnt(1)
	v_add_f64 v[10:11], v[10:11], v[2:3]
	v_add_f64 v[14:15], v[12:13], v[4:5]
	ds_read2_b64 v[2:5], v22 offset0:26 offset1:27
	s_waitcnt lgkmcnt(1)
	v_add_f64 v[16:17], v[10:11], v[6:7]
	ds_read2_b64 v[10:13], v22 offset0:28 offset1:29
	v_add_f64 v[14:15], v[14:15], v[8:9]
	ds_read2_b64 v[6:9], v22 offset0:30 offset1:31
	s_waitcnt lgkmcnt(2)
	v_add_f64 v[2:3], v[16:17], v[2:3]
	v_add_f64 v[4:5], v[14:15], v[4:5]
	s_waitcnt lgkmcnt(1)
	v_add_f64 v[2:3], v[2:3], v[10:11]
	v_add_f64 v[4:5], v[4:5], v[12:13]
	;; [unrolled: 3-line block ×3, first 2 shown]
	ds_write2_b64 v22, v[2:3], v[4:5] offset1:1
.LBB35_10:
	s_or_b64 exec, exec, s[4:5]
	s_waitcnt lgkmcnt(0)
	s_barrier
	s_and_saveexec_b64 s[0:1], vcc
	s_cbranch_execz .LBB35_13
; %bb.11:
	s_mul_i32 s0, s8, s15
	s_mul_hi_u32 s1, s8, s14
	s_add_i32 s0, s1, s0
	s_mul_i32 s1, s9, s14
	s_add_i32 s1, s0, s1
	s_mul_i32 s0, s8, s14
	s_lshl_b64 s[0:1], s[0:1], 4
	s_add_u32 s0, s12, s0
	s_addc_u32 s1, s13, s1
	v_mov_b32_e32 v2, 0
	s_load_dwordx4 s[12:15], s[0:1], 0x0
	ds_read2_b64 v[4:7], v2 offset1:1
	s_ashr_i32 s3, s2, 31
	s_lshl_b64 s[4:5], s[6:7], 4
	v_add_u32_e32 v1, 0x100, v1
	s_waitcnt lgkmcnt(0)
	v_mul_f64 v[2:3], s[12:13], v[4:5]
	v_fma_f64 v[2:3], s[14:15], v[6:7], -v[2:3]
	v_mul_f64 v[6:7], s[12:13], v[6:7]
	v_fma_f64 v[4:5], v[4:5], -s[14:15], -v[6:7]
	v_mad_i64_i32 v[6:7], s[0:1], s2, v0, 0
	s_lshl_b64 s[0:1], s[18:19], 4
	s_add_u32 s4, s10, s4
	s_addc_u32 s5, s11, s5
	s_add_u32 s0, s4, s0
	v_lshlrev_b64 v[6:7], 4, v[6:7]
	s_addc_u32 s1, s5, s1
	v_mov_b32_e32 v8, s1
	v_add_co_u32_e32 v6, vcc, s0, v6
	v_addc_co_u32_e32 v7, vcc, v8, v7, vcc
	v_add_co_u32_e32 v6, vcc, 8, v6
	s_lshl_b64 s[0:1], s[2:3], 14
	v_addc_co_u32_e32 v7, vcc, 0, v7, vcc
	s_mov_b64 s[2:3], 0
	v_mov_b32_e32 v8, s1
.LBB35_12:                              ; =>This Inner Loop Header: Depth=1
	global_load_dwordx4 v[10:13], v[6:7], off offset:-8
	ds_read2_b64 v[14:17], v1 offset1:1
	v_add_u32_e32 v0, 0x400, v0
	v_cmp_le_i32_e32 vcc, s22, v0
	s_or_b64 s[2:3], vcc, s[2:3]
	v_add_u32_e32 v1, 0x4000, v1
	s_waitcnt lgkmcnt(0)
	v_mul_f64 v[18:19], v[4:5], v[16:17]
	v_mul_f64 v[16:17], v[2:3], v[16:17]
	v_fmac_f64_e32 v[18:19], v[2:3], v[14:15]
	v_fma_f64 v[14:15], v[4:5], v[14:15], -v[16:17]
	s_waitcnt vmcnt(0)
	v_add_f64 v[10:11], v[10:11], v[18:19]
	v_add_f64 v[12:13], v[12:13], v[14:15]
	global_store_dwordx4 v[6:7], v[10:13], off offset:-8
	v_add_co_u32_e32 v6, vcc, s0, v6
	v_addc_co_u32_e32 v7, vcc, v7, v8, vcc
	s_andn2_b64 exec, exec, s[2:3]
	s_cbranch_execnz .LBB35_12
.LBB35_13:
	s_endpgm
	.section	.rodata,"a",@progbits
	.p2align	6, 0x0
	.amdhsa_kernel _ZN9rocsolver6v33100L17larf_right_kernelILi1024E19rocblas_complex_numIdEiPKPS3_EEvT1_S7_T2_lS7_lPKT0_lS8_lS7_l
		.amdhsa_group_segment_fixed_size 0
		.amdhsa_private_segment_fixed_size 0
		.amdhsa_kernarg_size 88
		.amdhsa_user_sgpr_count 6
		.amdhsa_user_sgpr_private_segment_buffer 1
		.amdhsa_user_sgpr_dispatch_ptr 0
		.amdhsa_user_sgpr_queue_ptr 0
		.amdhsa_user_sgpr_kernarg_segment_ptr 1
		.amdhsa_user_sgpr_dispatch_id 0
		.amdhsa_user_sgpr_flat_scratch_init 0
		.amdhsa_user_sgpr_kernarg_preload_length 0
		.amdhsa_user_sgpr_kernarg_preload_offset 0
		.amdhsa_user_sgpr_private_segment_size 0
		.amdhsa_uses_dynamic_stack 0
		.amdhsa_system_sgpr_private_segment_wavefront_offset 0
		.amdhsa_system_sgpr_workgroup_id_x 1
		.amdhsa_system_sgpr_workgroup_id_y 1
		.amdhsa_system_sgpr_workgroup_id_z 1
		.amdhsa_system_sgpr_workgroup_info 0
		.amdhsa_system_vgpr_workitem_id 0
		.amdhsa_next_free_vgpr 23
		.amdhsa_next_free_sgpr 30
		.amdhsa_accum_offset 24
		.amdhsa_reserve_vcc 1
		.amdhsa_reserve_flat_scratch 0
		.amdhsa_float_round_mode_32 0
		.amdhsa_float_round_mode_16_64 0
		.amdhsa_float_denorm_mode_32 3
		.amdhsa_float_denorm_mode_16_64 3
		.amdhsa_dx10_clamp 1
		.amdhsa_ieee_mode 1
		.amdhsa_fp16_overflow 0
		.amdhsa_tg_split 0
		.amdhsa_exception_fp_ieee_invalid_op 0
		.amdhsa_exception_fp_denorm_src 0
		.amdhsa_exception_fp_ieee_div_zero 0
		.amdhsa_exception_fp_ieee_overflow 0
		.amdhsa_exception_fp_ieee_underflow 0
		.amdhsa_exception_fp_ieee_inexact 0
		.amdhsa_exception_int_div_zero 0
	.end_amdhsa_kernel
	.section	.text._ZN9rocsolver6v33100L17larf_right_kernelILi1024E19rocblas_complex_numIdEiPKPS3_EEvT1_S7_T2_lS7_lPKT0_lS8_lS7_l,"axG",@progbits,_ZN9rocsolver6v33100L17larf_right_kernelILi1024E19rocblas_complex_numIdEiPKPS3_EEvT1_S7_T2_lS7_lPKT0_lS8_lS7_l,comdat
.Lfunc_end35:
	.size	_ZN9rocsolver6v33100L17larf_right_kernelILi1024E19rocblas_complex_numIdEiPKPS3_EEvT1_S7_T2_lS7_lPKT0_lS8_lS7_l, .Lfunc_end35-_ZN9rocsolver6v33100L17larf_right_kernelILi1024E19rocblas_complex_numIdEiPKPS3_EEvT1_S7_T2_lS7_lPKT0_lS8_lS7_l
                                        ; -- End function
	.section	.AMDGPU.csdata,"",@progbits
; Kernel info:
; codeLenInByte = 1892
; NumSgprs: 34
; NumVgprs: 23
; NumAgprs: 0
; TotalNumVgprs: 23
; ScratchSize: 0
; MemoryBound: 0
; FloatMode: 240
; IeeeMode: 1
; LDSByteSize: 0 bytes/workgroup (compile time only)
; SGPRBlocks: 4
; VGPRBlocks: 2
; NumSGPRsForWavesPerEU: 34
; NumVGPRsForWavesPerEU: 23
; AccumOffset: 24
; Occupancy: 8
; WaveLimiterHint : 0
; COMPUTE_PGM_RSRC2:SCRATCH_EN: 0
; COMPUTE_PGM_RSRC2:USER_SGPR: 6
; COMPUTE_PGM_RSRC2:TRAP_HANDLER: 0
; COMPUTE_PGM_RSRC2:TGID_X_EN: 1
; COMPUTE_PGM_RSRC2:TGID_Y_EN: 1
; COMPUTE_PGM_RSRC2:TGID_Z_EN: 1
; COMPUTE_PGM_RSRC2:TIDIG_COMP_CNT: 0
; COMPUTE_PGM_RSRC3_GFX90A:ACCUM_OFFSET: 5
; COMPUTE_PGM_RSRC3_GFX90A:TG_SPLIT: 0
	.section	.text._ZN9rocsolver6v33100L9get_arrayI19rocblas_complex_numIdEiEEvPPT_S5_lT0_,"axG",@progbits,_ZN9rocsolver6v33100L9get_arrayI19rocblas_complex_numIdEiEEvPPT_S5_lT0_,comdat
	.globl	_ZN9rocsolver6v33100L9get_arrayI19rocblas_complex_numIdEiEEvPPT_S5_lT0_ ; -- Begin function _ZN9rocsolver6v33100L9get_arrayI19rocblas_complex_numIdEiEEvPPT_S5_lT0_
	.p2align	8
	.type	_ZN9rocsolver6v33100L9get_arrayI19rocblas_complex_numIdEiEEvPPT_S5_lT0_,@function
_ZN9rocsolver6v33100L9get_arrayI19rocblas_complex_numIdEiEEvPPT_S5_lT0_: ; @_ZN9rocsolver6v33100L9get_arrayI19rocblas_complex_numIdEiEEvPPT_S5_lT0_
; %bb.0:
	s_load_dword s0, s[4:5], 0x2c
	s_load_dword s1, s[4:5], 0x18
	s_waitcnt lgkmcnt(0)
	s_and_b32 s0, s0, 0xffff
	s_mul_i32 s6, s6, s0
	v_add_u32_e32 v0, s6, v0
	v_cmp_gt_i32_e32 vcc, s1, v0
	s_and_saveexec_b64 s[0:1], vcc
	s_cbranch_execz .LBB36_2
; %bb.1:
	s_load_dwordx2 s[6:7], s[4:5], 0x10
	s_load_dwordx4 s[0:3], s[4:5], 0x0
	v_ashrrev_i32_e32 v1, 31, v0
	s_waitcnt lgkmcnt(0)
	v_mul_lo_u32 v4, v0, s7
	v_mul_lo_u32 v5, v1, s6
	v_mad_u64_u32 v[2:3], s[4:5], v0, s6, 0
	v_add3_u32 v3, v3, v4, v5
	v_lshlrev_b64 v[2:3], 4, v[2:3]
	v_mov_b32_e32 v4, s3
	v_add_co_u32_e32 v2, vcc, s2, v2
	v_addc_co_u32_e32 v3, vcc, v4, v3, vcc
	v_lshlrev_b64 v[0:1], 3, v[0:1]
	v_mov_b32_e32 v4, s1
	v_add_co_u32_e32 v0, vcc, s0, v0
	v_addc_co_u32_e32 v1, vcc, v4, v1, vcc
	global_store_dwordx2 v[0:1], v[2:3], off
.LBB36_2:
	s_endpgm
	.section	.rodata,"a",@progbits
	.p2align	6, 0x0
	.amdhsa_kernel _ZN9rocsolver6v33100L9get_arrayI19rocblas_complex_numIdEiEEvPPT_S5_lT0_
		.amdhsa_group_segment_fixed_size 0
		.amdhsa_private_segment_fixed_size 0
		.amdhsa_kernarg_size 288
		.amdhsa_user_sgpr_count 6
		.amdhsa_user_sgpr_private_segment_buffer 1
		.amdhsa_user_sgpr_dispatch_ptr 0
		.amdhsa_user_sgpr_queue_ptr 0
		.amdhsa_user_sgpr_kernarg_segment_ptr 1
		.amdhsa_user_sgpr_dispatch_id 0
		.amdhsa_user_sgpr_flat_scratch_init 0
		.amdhsa_user_sgpr_kernarg_preload_length 0
		.amdhsa_user_sgpr_kernarg_preload_offset 0
		.amdhsa_user_sgpr_private_segment_size 0
		.amdhsa_uses_dynamic_stack 0
		.amdhsa_system_sgpr_private_segment_wavefront_offset 0
		.amdhsa_system_sgpr_workgroup_id_x 1
		.amdhsa_system_sgpr_workgroup_id_y 0
		.amdhsa_system_sgpr_workgroup_id_z 0
		.amdhsa_system_sgpr_workgroup_info 0
		.amdhsa_system_vgpr_workitem_id 0
		.amdhsa_next_free_vgpr 6
		.amdhsa_next_free_sgpr 8
		.amdhsa_accum_offset 8
		.amdhsa_reserve_vcc 1
		.amdhsa_reserve_flat_scratch 0
		.amdhsa_float_round_mode_32 0
		.amdhsa_float_round_mode_16_64 0
		.amdhsa_float_denorm_mode_32 3
		.amdhsa_float_denorm_mode_16_64 3
		.amdhsa_dx10_clamp 1
		.amdhsa_ieee_mode 1
		.amdhsa_fp16_overflow 0
		.amdhsa_tg_split 0
		.amdhsa_exception_fp_ieee_invalid_op 0
		.amdhsa_exception_fp_denorm_src 0
		.amdhsa_exception_fp_ieee_div_zero 0
		.amdhsa_exception_fp_ieee_overflow 0
		.amdhsa_exception_fp_ieee_underflow 0
		.amdhsa_exception_fp_ieee_inexact 0
		.amdhsa_exception_int_div_zero 0
	.end_amdhsa_kernel
	.section	.text._ZN9rocsolver6v33100L9get_arrayI19rocblas_complex_numIdEiEEvPPT_S5_lT0_,"axG",@progbits,_ZN9rocsolver6v33100L9get_arrayI19rocblas_complex_numIdEiEEvPPT_S5_lT0_,comdat
.Lfunc_end36:
	.size	_ZN9rocsolver6v33100L9get_arrayI19rocblas_complex_numIdEiEEvPPT_S5_lT0_, .Lfunc_end36-_ZN9rocsolver6v33100L9get_arrayI19rocblas_complex_numIdEiEEvPPT_S5_lT0_
                                        ; -- End function
	.section	.AMDGPU.csdata,"",@progbits
; Kernel info:
; codeLenInByte = 156
; NumSgprs: 12
; NumVgprs: 6
; NumAgprs: 0
; TotalNumVgprs: 6
; ScratchSize: 0
; MemoryBound: 0
; FloatMode: 240
; IeeeMode: 1
; LDSByteSize: 0 bytes/workgroup (compile time only)
; SGPRBlocks: 1
; VGPRBlocks: 0
; NumSGPRsForWavesPerEU: 12
; NumVGPRsForWavesPerEU: 6
; AccumOffset: 8
; Occupancy: 8
; WaveLimiterHint : 0
; COMPUTE_PGM_RSRC2:SCRATCH_EN: 0
; COMPUTE_PGM_RSRC2:USER_SGPR: 6
; COMPUTE_PGM_RSRC2:TRAP_HANDLER: 0
; COMPUTE_PGM_RSRC2:TGID_X_EN: 1
; COMPUTE_PGM_RSRC2:TGID_Y_EN: 0
; COMPUTE_PGM_RSRC2:TGID_Z_EN: 0
; COMPUTE_PGM_RSRC2:TIDIG_COMP_CNT: 0
; COMPUTE_PGM_RSRC3_GFX90A:ACCUM_OFFSET: 1
; COMPUTE_PGM_RSRC3_GFX90A:TG_SPLIT: 0
	.section	.text._ZN9rocsolver6v33100L12restore_diagI19rocblas_complex_numIdEiS3_PKPS3_EEvPT1_llT2_lT0_lSA_,"axG",@progbits,_ZN9rocsolver6v33100L12restore_diagI19rocblas_complex_numIdEiS3_PKPS3_EEvPT1_llT2_lT0_lSA_,comdat
	.globl	_ZN9rocsolver6v33100L12restore_diagI19rocblas_complex_numIdEiS3_PKPS3_EEvPT1_llT2_lT0_lSA_ ; -- Begin function _ZN9rocsolver6v33100L12restore_diagI19rocblas_complex_numIdEiS3_PKPS3_EEvPT1_llT2_lT0_lSA_
	.p2align	8
	.type	_ZN9rocsolver6v33100L12restore_diagI19rocblas_complex_numIdEiS3_PKPS3_EEvPT1_llT2_lT0_lSA_,@function
_ZN9rocsolver6v33100L12restore_diagI19rocblas_complex_numIdEiS3_PKPS3_EEvPT1_llT2_lT0_lSA_: ; @_ZN9rocsolver6v33100L12restore_diagI19rocblas_complex_numIdEiS3_PKPS3_EEvPT1_llT2_lT0_lSA_
; %bb.0:
	s_load_dword s0, s[4:5], 0x4c
	s_load_dword s1, s[4:5], 0x38
	v_bfe_u32 v0, v0, 10, 10
	s_waitcnt lgkmcnt(0)
	s_lshr_b32 s0, s0, 16
	s_mul_i32 s7, s7, s0
	v_add_u32_e32 v0, s7, v0
	v_cmp_gt_i32_e32 vcc, s1, v0
	s_and_saveexec_b64 s[0:1], vcc
	s_cbranch_execz .LBB37_2
; %bb.1:
	s_load_dwordx8 s[8:15], s[4:5], 0x0
	s_ashr_i32 s7, s6, 31
	s_lshl_b64 s[0:1], s[6:7], 3
	s_waitcnt lgkmcnt(0)
	s_add_u32 s0, s14, s0
	s_addc_u32 s1, s15, s1
	s_load_dwordx2 s[2:3], s[4:5], 0x20
	s_load_dwordx2 s[14:15], s[0:1], 0x0
	s_load_dword s16, s[4:5], 0x28
	s_mul_i32 s4, s6, s13
	s_mul_hi_u32 s5, s6, s12
	s_waitcnt lgkmcnt(0)
	s_lshl_b64 s[0:1], s[2:3], 4
	s_add_u32 s2, s14, s0
	s_addc_u32 s3, s15, s1
	s_add_i32 s0, s5, s4
	s_mul_i32 s1, s7, s12
	s_add_i32 s1, s0, s1
	s_mul_i32 s0, s6, s12
	s_lshl_b64 s[0:1], s[0:1], 4
	s_add_u32 s4, s8, s0
	s_addc_u32 s5, s9, s1
	s_lshl_b64 s[0:1], s[10:11], 4
	s_add_u32 s4, s4, s0
	s_addc_u32 s5, s5, s1
	v_mad_u64_u32 v[4:5], s[0:1], v0, s16, v[0:1]
	v_ashrrev_i32_e32 v1, 31, v0
	v_lshlrev_b64 v[0:1], 4, v[0:1]
	v_mov_b32_e32 v2, s5
	v_add_co_u32_e32 v0, vcc, s4, v0
	v_addc_co_u32_e32 v1, vcc, v2, v1, vcc
	global_load_dwordx4 v[0:3], v[0:1], off
	v_ashrrev_i32_e32 v5, 31, v4
	v_lshlrev_b64 v[4:5], 4, v[4:5]
	v_mov_b32_e32 v6, s3
	v_add_co_u32_e32 v4, vcc, s2, v4
	v_addc_co_u32_e32 v5, vcc, v6, v5, vcc
	s_waitcnt vmcnt(0)
	global_store_dwordx4 v[4:5], v[0:3], off
.LBB37_2:
	s_endpgm
	.section	.rodata,"a",@progbits
	.p2align	6, 0x0
	.amdhsa_kernel _ZN9rocsolver6v33100L12restore_diagI19rocblas_complex_numIdEiS3_PKPS3_EEvPT1_llT2_lT0_lSA_
		.amdhsa_group_segment_fixed_size 0
		.amdhsa_private_segment_fixed_size 0
		.amdhsa_kernarg_size 320
		.amdhsa_user_sgpr_count 6
		.amdhsa_user_sgpr_private_segment_buffer 1
		.amdhsa_user_sgpr_dispatch_ptr 0
		.amdhsa_user_sgpr_queue_ptr 0
		.amdhsa_user_sgpr_kernarg_segment_ptr 1
		.amdhsa_user_sgpr_dispatch_id 0
		.amdhsa_user_sgpr_flat_scratch_init 0
		.amdhsa_user_sgpr_kernarg_preload_length 0
		.amdhsa_user_sgpr_kernarg_preload_offset 0
		.amdhsa_user_sgpr_private_segment_size 0
		.amdhsa_uses_dynamic_stack 0
		.amdhsa_system_sgpr_private_segment_wavefront_offset 0
		.amdhsa_system_sgpr_workgroup_id_x 1
		.amdhsa_system_sgpr_workgroup_id_y 1
		.amdhsa_system_sgpr_workgroup_id_z 0
		.amdhsa_system_sgpr_workgroup_info 0
		.amdhsa_system_vgpr_workitem_id 1
		.amdhsa_next_free_vgpr 7
		.amdhsa_next_free_sgpr 17
		.amdhsa_accum_offset 8
		.amdhsa_reserve_vcc 1
		.amdhsa_reserve_flat_scratch 0
		.amdhsa_float_round_mode_32 0
		.amdhsa_float_round_mode_16_64 0
		.amdhsa_float_denorm_mode_32 3
		.amdhsa_float_denorm_mode_16_64 3
		.amdhsa_dx10_clamp 1
		.amdhsa_ieee_mode 1
		.amdhsa_fp16_overflow 0
		.amdhsa_tg_split 0
		.amdhsa_exception_fp_ieee_invalid_op 0
		.amdhsa_exception_fp_denorm_src 0
		.amdhsa_exception_fp_ieee_div_zero 0
		.amdhsa_exception_fp_ieee_overflow 0
		.amdhsa_exception_fp_ieee_underflow 0
		.amdhsa_exception_fp_ieee_inexact 0
		.amdhsa_exception_int_div_zero 0
	.end_amdhsa_kernel
	.section	.text._ZN9rocsolver6v33100L12restore_diagI19rocblas_complex_numIdEiS3_PKPS3_EEvPT1_llT2_lT0_lSA_,"axG",@progbits,_ZN9rocsolver6v33100L12restore_diagI19rocblas_complex_numIdEiS3_PKPS3_EEvPT1_llT2_lT0_lSA_,comdat
.Lfunc_end37:
	.size	_ZN9rocsolver6v33100L12restore_diagI19rocblas_complex_numIdEiS3_PKPS3_EEvPT1_llT2_lT0_lSA_, .Lfunc_end37-_ZN9rocsolver6v33100L12restore_diagI19rocblas_complex_numIdEiS3_PKPS3_EEvPT1_llT2_lT0_lSA_
                                        ; -- End function
	.section	.AMDGPU.csdata,"",@progbits
; Kernel info:
; codeLenInByte = 248
; NumSgprs: 21
; NumVgprs: 7
; NumAgprs: 0
; TotalNumVgprs: 7
; ScratchSize: 0
; MemoryBound: 0
; FloatMode: 240
; IeeeMode: 1
; LDSByteSize: 0 bytes/workgroup (compile time only)
; SGPRBlocks: 2
; VGPRBlocks: 0
; NumSGPRsForWavesPerEU: 21
; NumVGPRsForWavesPerEU: 7
; AccumOffset: 8
; Occupancy: 8
; WaveLimiterHint : 1
; COMPUTE_PGM_RSRC2:SCRATCH_EN: 0
; COMPUTE_PGM_RSRC2:USER_SGPR: 6
; COMPUTE_PGM_RSRC2:TRAP_HANDLER: 0
; COMPUTE_PGM_RSRC2:TGID_X_EN: 1
; COMPUTE_PGM_RSRC2:TGID_Y_EN: 1
; COMPUTE_PGM_RSRC2:TGID_Z_EN: 0
; COMPUTE_PGM_RSRC2:TIDIG_COMP_CNT: 1
; COMPUTE_PGM_RSRC3_GFX90A:ACCUM_OFFSET: 1
; COMPUTE_PGM_RSRC3_GFX90A:TG_SPLIT: 0
	.text
	.p2alignl 6, 3212836864
	.fill 256, 4, 3212836864
	.type	__hip_cuid_f211513507a4a873,@object ; @__hip_cuid_f211513507a4a873
	.section	.bss,"aw",@nobits
	.globl	__hip_cuid_f211513507a4a873
__hip_cuid_f211513507a4a873:
	.byte	0                               ; 0x0
	.size	__hip_cuid_f211513507a4a873, 1

	.ident	"AMD clang version 19.0.0git (https://github.com/RadeonOpenCompute/llvm-project roc-6.4.0 25133 c7fe45cf4b819c5991fe208aaa96edf142730f1d)"
	.section	".note.GNU-stack","",@progbits
	.addrsig
	.addrsig_sym __hip_cuid_f211513507a4a873
	.amdgpu_metadata
---
amdhsa.kernels:
  - .agpr_count:     0
    .args:
      - .address_space:  global
        .offset:         0
        .size:           8
        .value_kind:     global_buffer
      - .offset:         8
        .size:           4
        .value_kind:     by_value
      - .offset:         12
        .size:           4
        .value_kind:     by_value
    .group_segment_fixed_size: 0
    .kernarg_segment_align: 8
    .kernarg_segment_size: 16
    .language:       OpenCL C
    .language_version:
      - 2
      - 0
    .max_flat_workgroup_size: 32
    .name:           _ZN9rocsolver6v33100L6iota_nIfEEvPT_jS2_
    .private_segment_fixed_size: 0
    .sgpr_count:     10
    .sgpr_spill_count: 0
    .symbol:         _ZN9rocsolver6v33100L6iota_nIfEEvPT_jS2_.kd
    .uniform_work_group_size: 1
    .uses_dynamic_stack: false
    .vgpr_count:     2
    .vgpr_spill_count: 0
    .wavefront_size: 64
  - .agpr_count:     0
    .args:
      - .address_space:  global
        .offset:         0
        .size:           8
        .value_kind:     global_buffer
      - .offset:         8
        .size:           8
        .value_kind:     by_value
      - .offset:         16
        .size:           4
        .value_kind:     by_value
      - .offset:         20
        .size:           4
        .value_kind:     by_value
      - .offset:         24
        .size:           4
        .value_kind:     hidden_block_count_x
      - .offset:         28
        .size:           4
        .value_kind:     hidden_block_count_y
      - .offset:         32
        .size:           4
        .value_kind:     hidden_block_count_z
      - .offset:         36
        .size:           2
        .value_kind:     hidden_group_size_x
      - .offset:         38
        .size:           2
        .value_kind:     hidden_group_size_y
      - .offset:         40
        .size:           2
        .value_kind:     hidden_group_size_z
      - .offset:         42
        .size:           2
        .value_kind:     hidden_remainder_x
      - .offset:         44
        .size:           2
        .value_kind:     hidden_remainder_y
      - .offset:         46
        .size:           2
        .value_kind:     hidden_remainder_z
      - .offset:         64
        .size:           8
        .value_kind:     hidden_global_offset_x
      - .offset:         72
        .size:           8
        .value_kind:     hidden_global_offset_y
      - .offset:         80
        .size:           8
        .value_kind:     hidden_global_offset_z
      - .offset:         88
        .size:           2
        .value_kind:     hidden_grid_dims
    .group_segment_fixed_size: 0
    .kernarg_segment_align: 8
    .kernarg_segment_size: 280
    .language:       OpenCL C
    .language_version:
      - 2
      - 0
    .max_flat_workgroup_size: 1024
    .name:           _ZN9rocsolver6v33100L16reset_batch_infoIfiiPfEEvT2_lT0_T1_
    .private_segment_fixed_size: 0
    .sgpr_count:     16
    .sgpr_spill_count: 0
    .symbol:         _ZN9rocsolver6v33100L16reset_batch_infoIfiiPfEEvT2_lT0_T1_.kd
    .uniform_work_group_size: 1
    .uses_dynamic_stack: false
    .vgpr_count:     4
    .vgpr_spill_count: 0
    .wavefront_size: 64
  - .agpr_count:     0
    .args:
      - .address_space:  global
        .offset:         0
        .size:           8
        .value_kind:     global_buffer
      - .offset:         8
        .size:           8
        .value_kind:     by_value
      - .address_space:  global
        .offset:         16
        .size:           8
        .value_kind:     global_buffer
      - .address_space:  global
        .offset:         24
        .size:           8
        .value_kind:     global_buffer
      - .offset:         32
        .size:           8
        .value_kind:     by_value
      - .offset:         40
        .size:           8
        .value_kind:     by_value
      - .address_space:  global
        .offset:         48
        .size:           8
        .value_kind:     global_buffer
      - .offset:         56
        .size:           8
        .value_kind:     by_value
      - .offset:         64
        .size:           8
        .value_kind:     by_value
    .group_segment_fixed_size: 0
    .kernarg_segment_align: 8
    .kernarg_segment_size: 72
    .language:       OpenCL C
    .language_version:
      - 2
      - 0
    .max_flat_workgroup_size: 1024
    .name:           _ZN9rocsolver6v33100L11set_taubetaIfifPKPfEEvPT_lS6_T2_llPT1_ll
    .private_segment_fixed_size: 0
    .sgpr_count:     26
    .sgpr_spill_count: 0
    .symbol:         _ZN9rocsolver6v33100L11set_taubetaIfifPKPfEEvPT_lS6_T2_llPT1_ll.kd
    .uniform_work_group_size: 1
    .uses_dynamic_stack: false
    .vgpr_count:     8
    .vgpr_spill_count: 0
    .wavefront_size: 64
  - .agpr_count:     0
    .args:
      - .address_space:  global
        .offset:         0
        .size:           8
        .value_kind:     global_buffer
      - .offset:         8
        .size:           8
        .value_kind:     by_value
      - .offset:         16
        .size:           8
        .value_kind:     by_value
      - .address_space:  global
        .offset:         24
        .size:           8
        .value_kind:     global_buffer
      - .offset:         32
        .size:           8
        .value_kind:     by_value
      - .offset:         40
        .size:           4
        .value_kind:     by_value
      - .offset:         48
        .size:           8
        .value_kind:     by_value
      - .offset:         56
        .size:           4
        .value_kind:     by_value
      - .offset:         60
        .size:           1
        .value_kind:     by_value
      - .offset:         64
        .size:           4
        .value_kind:     hidden_block_count_x
      - .offset:         68
        .size:           4
        .value_kind:     hidden_block_count_y
      - .offset:         72
        .size:           4
        .value_kind:     hidden_block_count_z
      - .offset:         76
        .size:           2
        .value_kind:     hidden_group_size_x
      - .offset:         78
        .size:           2
        .value_kind:     hidden_group_size_y
      - .offset:         80
        .size:           2
        .value_kind:     hidden_group_size_z
      - .offset:         82
        .size:           2
        .value_kind:     hidden_remainder_x
      - .offset:         84
        .size:           2
        .value_kind:     hidden_remainder_y
      - .offset:         86
        .size:           2
        .value_kind:     hidden_remainder_z
      - .offset:         104
        .size:           8
        .value_kind:     hidden_global_offset_x
      - .offset:         112
        .size:           8
        .value_kind:     hidden_global_offset_y
      - .offset:         120
        .size:           8
        .value_kind:     hidden_global_offset_z
      - .offset:         128
        .size:           2
        .value_kind:     hidden_grid_dims
    .group_segment_fixed_size: 0
    .kernarg_segment_align: 8
    .kernarg_segment_size: 320
    .language:       OpenCL C
    .language_version:
      - 2
      - 0
    .max_flat_workgroup_size: 1024
    .name:           _ZN9rocsolver6v33100L8set_diagIfifPKPfTnNSt9enable_ifIXoont18rocblas_is_complexIT_E18rocblas_is_complexIT1_EEiE4typeELi0EEEvPS7_llT2_lT0_lSC_b
    .private_segment_fixed_size: 0
    .sgpr_count:     23
    .sgpr_spill_count: 0
    .symbol:         _ZN9rocsolver6v33100L8set_diagIfifPKPfTnNSt9enable_ifIXoont18rocblas_is_complexIT_E18rocblas_is_complexIT1_EEiE4typeELi0EEEvPS7_llT2_lT0_lSC_b.kd
    .uniform_work_group_size: 1
    .uses_dynamic_stack: false
    .vgpr_count:     6
    .vgpr_spill_count: 0
    .wavefront_size: 64
  - .agpr_count:     0
    .args:
      - .offset:         0
        .size:           4
        .value_kind:     by_value
      - .offset:         4
        .size:           4
        .value_kind:     by_value
      - .address_space:  global
        .offset:         8
        .size:           8
        .value_kind:     global_buffer
      - .offset:         16
        .size:           8
        .value_kind:     by_value
      - .offset:         24
        .size:           4
        .value_kind:     by_value
      - .offset:         32
        .size:           8
        .value_kind:     by_value
    .group_segment_fixed_size: 0
    .kernarg_segment_align: 8
    .kernarg_segment_size: 40
    .language:       OpenCL C
    .language_version:
      - 2
      - 0
    .max_flat_workgroup_size: 1024
    .name:           _ZN9rocsolver6v33100L13conj_in_placeIfiPfTnNSt9enable_ifIXnt18rocblas_is_complexIT_EEiE4typeELi0EEEvT0_S7_T1_lS7_l
    .private_segment_fixed_size: 0
    .sgpr_count:     4
    .sgpr_spill_count: 0
    .symbol:         _ZN9rocsolver6v33100L13conj_in_placeIfiPfTnNSt9enable_ifIXnt18rocblas_is_complexIT_EEiE4typeELi0EEEvT0_S7_T1_lS7_l.kd
    .uniform_work_group_size: 1
    .uses_dynamic_stack: false
    .vgpr_count:     0
    .vgpr_spill_count: 0
    .wavefront_size: 64
  - .agpr_count:     0
    .args:
      - .offset:         0
        .size:           4
        .value_kind:     by_value
      - .offset:         4
        .size:           4
        .value_kind:     by_value
      - .address_space:  global
        .offset:         8
        .size:           8
        .value_kind:     global_buffer
      - .offset:         16
        .size:           8
        .value_kind:     by_value
      - .offset:         24
        .size:           4
        .value_kind:     by_value
      - .offset:         32
        .size:           8
        .value_kind:     by_value
      - .address_space:  global
        .offset:         40
        .size:           8
        .value_kind:     global_buffer
      - .offset:         48
        .size:           8
        .value_kind:     by_value
      - .address_space:  global
        .offset:         56
        .size:           8
        .value_kind:     global_buffer
      - .offset:         64
        .size:           8
        .value_kind:     by_value
      - .offset:         72
        .size:           4
        .value_kind:     by_value
      - .offset:         80
        .size:           8
        .value_kind:     by_value
    .group_segment_fixed_size: 0
    .kernarg_segment_align: 8
    .kernarg_segment_size: 88
    .language:       OpenCL C
    .language_version:
      - 2
      - 0
    .max_flat_workgroup_size: 1024
    .name:           _ZN9rocsolver6v33100L16larf_left_kernelILi1024EfiPKPfEEvT1_S5_T2_lS5_lPKT0_lS6_lS5_l
    .private_segment_fixed_size: 0
    .sgpr_count:     40
    .sgpr_spill_count: 0
    .symbol:         _ZN9rocsolver6v33100L16larf_left_kernelILi1024EfiPKPfEEvT1_S5_T2_lS5_lPKT0_lS6_lS5_l.kd
    .uniform_work_group_size: 1
    .uses_dynamic_stack: false
    .vgpr_count:     22
    .vgpr_spill_count: 0
    .wavefront_size: 64
  - .agpr_count:     0
    .args:
      - .offset:         0
        .size:           4
        .value_kind:     by_value
      - .offset:         4
        .size:           4
        .value_kind:     by_value
      - .address_space:  global
        .offset:         8
        .size:           8
        .value_kind:     global_buffer
      - .offset:         16
        .size:           8
        .value_kind:     by_value
      - .offset:         24
        .size:           4
        .value_kind:     by_value
      - .offset:         32
        .size:           8
        .value_kind:     by_value
      - .address_space:  global
        .offset:         40
        .size:           8
        .value_kind:     global_buffer
      - .offset:         48
        .size:           8
        .value_kind:     by_value
      - .address_space:  global
        .offset:         56
        .size:           8
        .value_kind:     global_buffer
      - .offset:         64
        .size:           8
        .value_kind:     by_value
      - .offset:         72
        .size:           4
        .value_kind:     by_value
      - .offset:         80
        .size:           8
        .value_kind:     by_value
    .group_segment_fixed_size: 0
    .kernarg_segment_align: 8
    .kernarg_segment_size: 88
    .language:       OpenCL C
    .language_version:
      - 2
      - 0
    .max_flat_workgroup_size: 1024
    .name:           _ZN9rocsolver6v33100L17larf_right_kernelILi1024EfiPKPfEEvT1_S5_T2_lS5_lPKT0_lS6_lS5_l
    .private_segment_fixed_size: 0
    .sgpr_count:     38
    .sgpr_spill_count: 0
    .symbol:         _ZN9rocsolver6v33100L17larf_right_kernelILi1024EfiPKPfEEvT1_S5_T2_lS5_lPKT0_lS6_lS5_l.kd
    .uniform_work_group_size: 1
    .uses_dynamic_stack: false
    .vgpr_count:     18
    .vgpr_spill_count: 0
    .wavefront_size: 64
  - .agpr_count:     0
    .args:
      - .address_space:  global
        .offset:         0
        .size:           8
        .value_kind:     global_buffer
      - .address_space:  global
        .offset:         8
        .size:           8
        .value_kind:     global_buffer
      - .offset:         16
        .size:           8
        .value_kind:     by_value
      - .offset:         24
        .size:           4
        .value_kind:     by_value
      - .offset:         32
        .size:           4
        .value_kind:     hidden_block_count_x
      - .offset:         36
        .size:           4
        .value_kind:     hidden_block_count_y
      - .offset:         40
        .size:           4
        .value_kind:     hidden_block_count_z
      - .offset:         44
        .size:           2
        .value_kind:     hidden_group_size_x
      - .offset:         46
        .size:           2
        .value_kind:     hidden_group_size_y
      - .offset:         48
        .size:           2
        .value_kind:     hidden_group_size_z
      - .offset:         50
        .size:           2
        .value_kind:     hidden_remainder_x
      - .offset:         52
        .size:           2
        .value_kind:     hidden_remainder_y
      - .offset:         54
        .size:           2
        .value_kind:     hidden_remainder_z
      - .offset:         72
        .size:           8
        .value_kind:     hidden_global_offset_x
      - .offset:         80
        .size:           8
        .value_kind:     hidden_global_offset_y
      - .offset:         88
        .size:           8
        .value_kind:     hidden_global_offset_z
      - .offset:         96
        .size:           2
        .value_kind:     hidden_grid_dims
    .group_segment_fixed_size: 0
    .kernarg_segment_align: 8
    .kernarg_segment_size: 288
    .language:       OpenCL C
    .language_version:
      - 2
      - 0
    .max_flat_workgroup_size: 1024
    .name:           _ZN9rocsolver6v33100L9get_arrayIfiEEvPPT_S3_lT0_
    .private_segment_fixed_size: 0
    .sgpr_count:     12
    .sgpr_spill_count: 0
    .symbol:         _ZN9rocsolver6v33100L9get_arrayIfiEEvPPT_S3_lT0_.kd
    .uniform_work_group_size: 1
    .uses_dynamic_stack: false
    .vgpr_count:     6
    .vgpr_spill_count: 0
    .wavefront_size: 64
  - .agpr_count:     0
    .args:
      - .address_space:  global
        .offset:         0
        .size:           8
        .value_kind:     global_buffer
      - .offset:         8
        .size:           8
        .value_kind:     by_value
      - .offset:         16
        .size:           8
        .value_kind:     by_value
      - .address_space:  global
        .offset:         24
        .size:           8
        .value_kind:     global_buffer
      - .offset:         32
        .size:           8
        .value_kind:     by_value
      - .offset:         40
        .size:           4
        .value_kind:     by_value
      - .offset:         48
        .size:           8
        .value_kind:     by_value
      - .offset:         56
        .size:           4
        .value_kind:     by_value
      - .offset:         64
        .size:           4
        .value_kind:     hidden_block_count_x
      - .offset:         68
        .size:           4
        .value_kind:     hidden_block_count_y
      - .offset:         72
        .size:           4
        .value_kind:     hidden_block_count_z
      - .offset:         76
        .size:           2
        .value_kind:     hidden_group_size_x
      - .offset:         78
        .size:           2
        .value_kind:     hidden_group_size_y
      - .offset:         80
        .size:           2
        .value_kind:     hidden_group_size_z
      - .offset:         82
        .size:           2
        .value_kind:     hidden_remainder_x
      - .offset:         84
        .size:           2
        .value_kind:     hidden_remainder_y
      - .offset:         86
        .size:           2
        .value_kind:     hidden_remainder_z
      - .offset:         104
        .size:           8
        .value_kind:     hidden_global_offset_x
      - .offset:         112
        .size:           8
        .value_kind:     hidden_global_offset_y
      - .offset:         120
        .size:           8
        .value_kind:     hidden_global_offset_z
      - .offset:         128
        .size:           2
        .value_kind:     hidden_grid_dims
    .group_segment_fixed_size: 0
    .kernarg_segment_align: 8
    .kernarg_segment_size: 320
    .language:       OpenCL C
    .language_version:
      - 2
      - 0
    .max_flat_workgroup_size: 1024
    .name:           _ZN9rocsolver6v33100L12restore_diagIfifPKPfEEvPT1_llT2_lT0_lS8_
    .private_segment_fixed_size: 0
    .sgpr_count:     21
    .sgpr_spill_count: 0
    .symbol:         _ZN9rocsolver6v33100L12restore_diagIfifPKPfEEvPT1_llT2_lT0_lS8_.kd
    .uniform_work_group_size: 1
    .uses_dynamic_stack: false
    .vgpr_count:     5
    .vgpr_spill_count: 0
    .wavefront_size: 64
  - .agpr_count:     0
    .args:
      - .address_space:  global
        .offset:         0
        .size:           8
        .value_kind:     global_buffer
      - .offset:         8
        .size:           4
        .value_kind:     by_value
      - .offset:         16
        .size:           8
        .value_kind:     by_value
    .group_segment_fixed_size: 0
    .kernarg_segment_align: 8
    .kernarg_segment_size: 24
    .language:       OpenCL C
    .language_version:
      - 2
      - 0
    .max_flat_workgroup_size: 32
    .name:           _ZN9rocsolver6v33100L6iota_nIdEEvPT_jS2_
    .private_segment_fixed_size: 0
    .sgpr_count:     10
    .sgpr_spill_count: 0
    .symbol:         _ZN9rocsolver6v33100L6iota_nIdEEvPT_jS2_.kd
    .uniform_work_group_size: 1
    .uses_dynamic_stack: false
    .vgpr_count:     3
    .vgpr_spill_count: 0
    .wavefront_size: 64
  - .agpr_count:     0
    .args:
      - .address_space:  global
        .offset:         0
        .size:           8
        .value_kind:     global_buffer
      - .offset:         8
        .size:           8
        .value_kind:     by_value
      - .offset:         16
        .size:           4
        .value_kind:     by_value
      - .offset:         20
        .size:           4
        .value_kind:     by_value
      - .offset:         24
        .size:           4
        .value_kind:     hidden_block_count_x
      - .offset:         28
        .size:           4
        .value_kind:     hidden_block_count_y
      - .offset:         32
        .size:           4
        .value_kind:     hidden_block_count_z
      - .offset:         36
        .size:           2
        .value_kind:     hidden_group_size_x
      - .offset:         38
        .size:           2
        .value_kind:     hidden_group_size_y
      - .offset:         40
        .size:           2
        .value_kind:     hidden_group_size_z
      - .offset:         42
        .size:           2
        .value_kind:     hidden_remainder_x
      - .offset:         44
        .size:           2
        .value_kind:     hidden_remainder_y
      - .offset:         46
        .size:           2
        .value_kind:     hidden_remainder_z
      - .offset:         64
        .size:           8
        .value_kind:     hidden_global_offset_x
      - .offset:         72
        .size:           8
        .value_kind:     hidden_global_offset_y
      - .offset:         80
        .size:           8
        .value_kind:     hidden_global_offset_z
      - .offset:         88
        .size:           2
        .value_kind:     hidden_grid_dims
    .group_segment_fixed_size: 0
    .kernarg_segment_align: 8
    .kernarg_segment_size: 280
    .language:       OpenCL C
    .language_version:
      - 2
      - 0
    .max_flat_workgroup_size: 1024
    .name:           _ZN9rocsolver6v33100L16reset_batch_infoIdiiPdEEvT2_lT0_T1_
    .private_segment_fixed_size: 0
    .sgpr_count:     16
    .sgpr_spill_count: 0
    .symbol:         _ZN9rocsolver6v33100L16reset_batch_infoIdiiPdEEvT2_lT0_T1_.kd
    .uniform_work_group_size: 1
    .uses_dynamic_stack: false
    .vgpr_count:     4
    .vgpr_spill_count: 0
    .wavefront_size: 64
  - .agpr_count:     0
    .args:
      - .address_space:  global
        .offset:         0
        .size:           8
        .value_kind:     global_buffer
      - .offset:         8
        .size:           8
        .value_kind:     by_value
      - .address_space:  global
        .offset:         16
        .size:           8
        .value_kind:     global_buffer
      - .address_space:  global
        .offset:         24
        .size:           8
        .value_kind:     global_buffer
      - .offset:         32
        .size:           8
        .value_kind:     by_value
      - .offset:         40
        .size:           8
        .value_kind:     by_value
      - .address_space:  global
        .offset:         48
        .size:           8
        .value_kind:     global_buffer
      - .offset:         56
        .size:           8
        .value_kind:     by_value
      - .offset:         64
        .size:           8
        .value_kind:     by_value
    .group_segment_fixed_size: 0
    .kernarg_segment_align: 8
    .kernarg_segment_size: 72
    .language:       OpenCL C
    .language_version:
      - 2
      - 0
    .max_flat_workgroup_size: 1024
    .name:           _ZN9rocsolver6v33100L11set_taubetaIdidPKPdEEvPT_lS6_T2_llPT1_ll
    .private_segment_fixed_size: 0
    .sgpr_count:     28
    .sgpr_spill_count: 0
    .symbol:         _ZN9rocsolver6v33100L11set_taubetaIdidPKPdEEvPT_lS6_T2_llPT1_ll.kd
    .uniform_work_group_size: 1
    .uses_dynamic_stack: false
    .vgpr_count:     13
    .vgpr_spill_count: 0
    .wavefront_size: 64
  - .agpr_count:     0
    .args:
      - .address_space:  global
        .offset:         0
        .size:           8
        .value_kind:     global_buffer
      - .offset:         8
        .size:           8
        .value_kind:     by_value
      - .offset:         16
        .size:           8
        .value_kind:     by_value
      - .address_space:  global
        .offset:         24
        .size:           8
        .value_kind:     global_buffer
      - .offset:         32
        .size:           8
        .value_kind:     by_value
      - .offset:         40
        .size:           4
        .value_kind:     by_value
      - .offset:         48
        .size:           8
        .value_kind:     by_value
      - .offset:         56
        .size:           4
        .value_kind:     by_value
      - .offset:         60
        .size:           1
        .value_kind:     by_value
      - .offset:         64
        .size:           4
        .value_kind:     hidden_block_count_x
      - .offset:         68
        .size:           4
        .value_kind:     hidden_block_count_y
      - .offset:         72
        .size:           4
        .value_kind:     hidden_block_count_z
      - .offset:         76
        .size:           2
        .value_kind:     hidden_group_size_x
      - .offset:         78
        .size:           2
        .value_kind:     hidden_group_size_y
      - .offset:         80
        .size:           2
        .value_kind:     hidden_group_size_z
      - .offset:         82
        .size:           2
        .value_kind:     hidden_remainder_x
      - .offset:         84
        .size:           2
        .value_kind:     hidden_remainder_y
      - .offset:         86
        .size:           2
        .value_kind:     hidden_remainder_z
      - .offset:         104
        .size:           8
        .value_kind:     hidden_global_offset_x
      - .offset:         112
        .size:           8
        .value_kind:     hidden_global_offset_y
      - .offset:         120
        .size:           8
        .value_kind:     hidden_global_offset_z
      - .offset:         128
        .size:           2
        .value_kind:     hidden_grid_dims
    .group_segment_fixed_size: 0
    .kernarg_segment_align: 8
    .kernarg_segment_size: 320
    .language:       OpenCL C
    .language_version:
      - 2
      - 0
    .max_flat_workgroup_size: 1024
    .name:           _ZN9rocsolver6v33100L8set_diagIdidPKPdTnNSt9enable_ifIXoont18rocblas_is_complexIT_E18rocblas_is_complexIT1_EEiE4typeELi0EEEvPS7_llT2_lT0_lSC_b
    .private_segment_fixed_size: 0
    .sgpr_count:     21
    .sgpr_spill_count: 0
    .symbol:         _ZN9rocsolver6v33100L8set_diagIdidPKPdTnNSt9enable_ifIXoont18rocblas_is_complexIT_E18rocblas_is_complexIT1_EEiE4typeELi0EEEvPS7_llT2_lT0_lSC_b.kd
    .uniform_work_group_size: 1
    .uses_dynamic_stack: false
    .vgpr_count:     8
    .vgpr_spill_count: 0
    .wavefront_size: 64
  - .agpr_count:     0
    .args:
      - .offset:         0
        .size:           4
        .value_kind:     by_value
      - .offset:         4
        .size:           4
        .value_kind:     by_value
      - .address_space:  global
        .offset:         8
        .size:           8
        .value_kind:     global_buffer
      - .offset:         16
        .size:           8
        .value_kind:     by_value
      - .offset:         24
        .size:           4
        .value_kind:     by_value
      - .offset:         32
        .size:           8
        .value_kind:     by_value
    .group_segment_fixed_size: 0
    .kernarg_segment_align: 8
    .kernarg_segment_size: 40
    .language:       OpenCL C
    .language_version:
      - 2
      - 0
    .max_flat_workgroup_size: 1024
    .name:           _ZN9rocsolver6v33100L13conj_in_placeIdiPdTnNSt9enable_ifIXnt18rocblas_is_complexIT_EEiE4typeELi0EEEvT0_S7_T1_lS7_l
    .private_segment_fixed_size: 0
    .sgpr_count:     4
    .sgpr_spill_count: 0
    .symbol:         _ZN9rocsolver6v33100L13conj_in_placeIdiPdTnNSt9enable_ifIXnt18rocblas_is_complexIT_EEiE4typeELi0EEEvT0_S7_T1_lS7_l.kd
    .uniform_work_group_size: 1
    .uses_dynamic_stack: false
    .vgpr_count:     0
    .vgpr_spill_count: 0
    .wavefront_size: 64
  - .agpr_count:     0
    .args:
      - .offset:         0
        .size:           4
        .value_kind:     by_value
      - .offset:         4
        .size:           4
        .value_kind:     by_value
      - .address_space:  global
        .offset:         8
        .size:           8
        .value_kind:     global_buffer
      - .offset:         16
        .size:           8
        .value_kind:     by_value
      - .offset:         24
        .size:           4
        .value_kind:     by_value
      - .offset:         32
        .size:           8
        .value_kind:     by_value
      - .address_space:  global
        .offset:         40
        .size:           8
        .value_kind:     global_buffer
      - .offset:         48
        .size:           8
        .value_kind:     by_value
      - .address_space:  global
        .offset:         56
        .size:           8
        .value_kind:     global_buffer
      - .offset:         64
        .size:           8
        .value_kind:     by_value
      - .offset:         72
        .size:           4
        .value_kind:     by_value
      - .offset:         80
        .size:           8
        .value_kind:     by_value
    .group_segment_fixed_size: 0
    .kernarg_segment_align: 8
    .kernarg_segment_size: 88
    .language:       OpenCL C
    .language_version:
      - 2
      - 0
    .max_flat_workgroup_size: 1024
    .name:           _ZN9rocsolver6v33100L16larf_left_kernelILi1024EdiPKPdEEvT1_S5_T2_lS5_lPKT0_lS6_lS5_l
    .private_segment_fixed_size: 0
    .sgpr_count:     32
    .sgpr_spill_count: 0
    .symbol:         _ZN9rocsolver6v33100L16larf_left_kernelILi1024EdiPKPdEEvT1_S5_T2_lS5_lPKT0_lS6_lS5_l.kd
    .uniform_work_group_size: 1
    .uses_dynamic_stack: false
    .vgpr_count:     20
    .vgpr_spill_count: 0
    .wavefront_size: 64
  - .agpr_count:     0
    .args:
      - .offset:         0
        .size:           4
        .value_kind:     by_value
      - .offset:         4
        .size:           4
        .value_kind:     by_value
      - .address_space:  global
        .offset:         8
        .size:           8
        .value_kind:     global_buffer
      - .offset:         16
        .size:           8
        .value_kind:     by_value
      - .offset:         24
        .size:           4
        .value_kind:     by_value
      - .offset:         32
        .size:           8
        .value_kind:     by_value
      - .address_space:  global
        .offset:         40
        .size:           8
        .value_kind:     global_buffer
      - .offset:         48
        .size:           8
        .value_kind:     by_value
      - .address_space:  global
        .offset:         56
        .size:           8
        .value_kind:     global_buffer
      - .offset:         64
        .size:           8
        .value_kind:     by_value
      - .offset:         72
        .size:           4
        .value_kind:     by_value
      - .offset:         80
        .size:           8
        .value_kind:     by_value
    .group_segment_fixed_size: 0
    .kernarg_segment_align: 8
    .kernarg_segment_size: 88
    .language:       OpenCL C
    .language_version:
      - 2
      - 0
    .max_flat_workgroup_size: 1024
    .name:           _ZN9rocsolver6v33100L17larf_right_kernelILi1024EdiPKPdEEvT1_S5_T2_lS5_lPKT0_lS6_lS5_l
    .private_segment_fixed_size: 0
    .sgpr_count:     32
    .sgpr_spill_count: 0
    .symbol:         _ZN9rocsolver6v33100L17larf_right_kernelILi1024EdiPKPdEEvT1_S5_T2_lS5_lPKT0_lS6_lS5_l.kd
    .uniform_work_group_size: 1
    .uses_dynamic_stack: false
    .vgpr_count:     21
    .vgpr_spill_count: 0
    .wavefront_size: 64
  - .agpr_count:     0
    .args:
      - .address_space:  global
        .offset:         0
        .size:           8
        .value_kind:     global_buffer
      - .address_space:  global
        .offset:         8
        .size:           8
        .value_kind:     global_buffer
      - .offset:         16
        .size:           8
        .value_kind:     by_value
      - .offset:         24
        .size:           4
        .value_kind:     by_value
      - .offset:         32
        .size:           4
        .value_kind:     hidden_block_count_x
      - .offset:         36
        .size:           4
        .value_kind:     hidden_block_count_y
      - .offset:         40
        .size:           4
        .value_kind:     hidden_block_count_z
      - .offset:         44
        .size:           2
        .value_kind:     hidden_group_size_x
      - .offset:         46
        .size:           2
        .value_kind:     hidden_group_size_y
      - .offset:         48
        .size:           2
        .value_kind:     hidden_group_size_z
      - .offset:         50
        .size:           2
        .value_kind:     hidden_remainder_x
      - .offset:         52
        .size:           2
        .value_kind:     hidden_remainder_y
      - .offset:         54
        .size:           2
        .value_kind:     hidden_remainder_z
      - .offset:         72
        .size:           8
        .value_kind:     hidden_global_offset_x
      - .offset:         80
        .size:           8
        .value_kind:     hidden_global_offset_y
      - .offset:         88
        .size:           8
        .value_kind:     hidden_global_offset_z
      - .offset:         96
        .size:           2
        .value_kind:     hidden_grid_dims
    .group_segment_fixed_size: 0
    .kernarg_segment_align: 8
    .kernarg_segment_size: 288
    .language:       OpenCL C
    .language_version:
      - 2
      - 0
    .max_flat_workgroup_size: 1024
    .name:           _ZN9rocsolver6v33100L9get_arrayIdiEEvPPT_S3_lT0_
    .private_segment_fixed_size: 0
    .sgpr_count:     12
    .sgpr_spill_count: 0
    .symbol:         _ZN9rocsolver6v33100L9get_arrayIdiEEvPPT_S3_lT0_.kd
    .uniform_work_group_size: 1
    .uses_dynamic_stack: false
    .vgpr_count:     6
    .vgpr_spill_count: 0
    .wavefront_size: 64
  - .agpr_count:     0
    .args:
      - .address_space:  global
        .offset:         0
        .size:           8
        .value_kind:     global_buffer
      - .offset:         8
        .size:           8
        .value_kind:     by_value
      - .offset:         16
        .size:           8
        .value_kind:     by_value
      - .address_space:  global
        .offset:         24
        .size:           8
        .value_kind:     global_buffer
      - .offset:         32
        .size:           8
        .value_kind:     by_value
      - .offset:         40
        .size:           4
        .value_kind:     by_value
      - .offset:         48
        .size:           8
        .value_kind:     by_value
      - .offset:         56
        .size:           4
        .value_kind:     by_value
      - .offset:         64
        .size:           4
        .value_kind:     hidden_block_count_x
      - .offset:         68
        .size:           4
        .value_kind:     hidden_block_count_y
      - .offset:         72
        .size:           4
        .value_kind:     hidden_block_count_z
      - .offset:         76
        .size:           2
        .value_kind:     hidden_group_size_x
      - .offset:         78
        .size:           2
        .value_kind:     hidden_group_size_y
      - .offset:         80
        .size:           2
        .value_kind:     hidden_group_size_z
      - .offset:         82
        .size:           2
        .value_kind:     hidden_remainder_x
      - .offset:         84
        .size:           2
        .value_kind:     hidden_remainder_y
      - .offset:         86
        .size:           2
        .value_kind:     hidden_remainder_z
      - .offset:         104
        .size:           8
        .value_kind:     hidden_global_offset_x
      - .offset:         112
        .size:           8
        .value_kind:     hidden_global_offset_y
      - .offset:         120
        .size:           8
        .value_kind:     hidden_global_offset_z
      - .offset:         128
        .size:           2
        .value_kind:     hidden_grid_dims
    .group_segment_fixed_size: 0
    .kernarg_segment_align: 8
    .kernarg_segment_size: 320
    .language:       OpenCL C
    .language_version:
      - 2
      - 0
    .max_flat_workgroup_size: 1024
    .name:           _ZN9rocsolver6v33100L12restore_diagIdidPKPdEEvPT1_llT2_lT0_lS8_
    .private_segment_fixed_size: 0
    .sgpr_count:     21
    .sgpr_spill_count: 0
    .symbol:         _ZN9rocsolver6v33100L12restore_diagIdidPKPdEEvPT1_llT2_lT0_lS8_.kd
    .uniform_work_group_size: 1
    .uses_dynamic_stack: false
    .vgpr_count:     5
    .vgpr_spill_count: 0
    .wavefront_size: 64
  - .agpr_count:     0
    .args:
      - .address_space:  global
        .offset:         0
        .size:           8
        .value_kind:     global_buffer
      - .offset:         8
        .size:           4
        .value_kind:     by_value
      - .offset:         12
        .size:           8
        .value_kind:     by_value
    .group_segment_fixed_size: 0
    .kernarg_segment_align: 8
    .kernarg_segment_size: 20
    .language:       OpenCL C
    .language_version:
      - 2
      - 0
    .max_flat_workgroup_size: 32
    .name:           _ZN9rocsolver6v33100L6iota_nI19rocblas_complex_numIfEEEvPT_jS4_
    .private_segment_fixed_size: 0
    .sgpr_count:     10
    .sgpr_spill_count: 0
    .symbol:         _ZN9rocsolver6v33100L6iota_nI19rocblas_complex_numIfEEEvPT_jS4_.kd
    .uniform_work_group_size: 1
    .uses_dynamic_stack: false
    .vgpr_count:     5
    .vgpr_spill_count: 0
    .wavefront_size: 64
  - .agpr_count:     0
    .args:
      - .address_space:  global
        .offset:         0
        .size:           8
        .value_kind:     global_buffer
      - .offset:         8
        .size:           8
        .value_kind:     by_value
      - .offset:         16
        .size:           4
        .value_kind:     by_value
      - .offset:         20
        .size:           4
        .value_kind:     by_value
      - .offset:         24
        .size:           4
        .value_kind:     hidden_block_count_x
      - .offset:         28
        .size:           4
        .value_kind:     hidden_block_count_y
      - .offset:         32
        .size:           4
        .value_kind:     hidden_block_count_z
      - .offset:         36
        .size:           2
        .value_kind:     hidden_group_size_x
      - .offset:         38
        .size:           2
        .value_kind:     hidden_group_size_y
      - .offset:         40
        .size:           2
        .value_kind:     hidden_group_size_z
      - .offset:         42
        .size:           2
        .value_kind:     hidden_remainder_x
      - .offset:         44
        .size:           2
        .value_kind:     hidden_remainder_y
      - .offset:         46
        .size:           2
        .value_kind:     hidden_remainder_z
      - .offset:         64
        .size:           8
        .value_kind:     hidden_global_offset_x
      - .offset:         72
        .size:           8
        .value_kind:     hidden_global_offset_y
      - .offset:         80
        .size:           8
        .value_kind:     hidden_global_offset_z
      - .offset:         88
        .size:           2
        .value_kind:     hidden_grid_dims
    .group_segment_fixed_size: 0
    .kernarg_segment_align: 8
    .kernarg_segment_size: 280
    .language:       OpenCL C
    .language_version:
      - 2
      - 0
    .max_flat_workgroup_size: 1024
    .name:           _ZN9rocsolver6v33100L16reset_batch_infoI19rocblas_complex_numIfEiiPS3_EEvT2_lT0_T1_
    .private_segment_fixed_size: 0
    .sgpr_count:     16
    .sgpr_spill_count: 0
    .symbol:         _ZN9rocsolver6v33100L16reset_batch_infoI19rocblas_complex_numIfEiiPS3_EEvT2_lT0_T1_.kd
    .uniform_work_group_size: 1
    .uses_dynamic_stack: false
    .vgpr_count:     4
    .vgpr_spill_count: 0
    .wavefront_size: 64
  - .agpr_count:     0
    .args:
      - .address_space:  global
        .offset:         0
        .size:           8
        .value_kind:     global_buffer
      - .offset:         8
        .size:           8
        .value_kind:     by_value
      - .offset:         16
        .size:           8
        .value_kind:     by_value
      - .address_space:  global
        .offset:         24
        .size:           8
        .value_kind:     global_buffer
      - .offset:         32
        .size:           8
        .value_kind:     by_value
      - .offset:         40
        .size:           4
        .value_kind:     by_value
      - .offset:         48
        .size:           8
        .value_kind:     by_value
      - .offset:         56
        .size:           4
        .value_kind:     by_value
      - .offset:         60
        .size:           1
        .value_kind:     by_value
      - .offset:         64
        .size:           4
        .value_kind:     hidden_block_count_x
      - .offset:         68
        .size:           4
        .value_kind:     hidden_block_count_y
      - .offset:         72
        .size:           4
        .value_kind:     hidden_block_count_z
      - .offset:         76
        .size:           2
        .value_kind:     hidden_group_size_x
      - .offset:         78
        .size:           2
        .value_kind:     hidden_group_size_y
      - .offset:         80
        .size:           2
        .value_kind:     hidden_group_size_z
      - .offset:         82
        .size:           2
        .value_kind:     hidden_remainder_x
      - .offset:         84
        .size:           2
        .value_kind:     hidden_remainder_y
      - .offset:         86
        .size:           2
        .value_kind:     hidden_remainder_z
      - .offset:         104
        .size:           8
        .value_kind:     hidden_global_offset_x
      - .offset:         112
        .size:           8
        .value_kind:     hidden_global_offset_y
      - .offset:         120
        .size:           8
        .value_kind:     hidden_global_offset_z
      - .offset:         128
        .size:           2
        .value_kind:     hidden_grid_dims
    .group_segment_fixed_size: 0
    .kernarg_segment_align: 8
    .kernarg_segment_size: 320
    .language:       OpenCL C
    .language_version:
      - 2
      - 0
    .max_flat_workgroup_size: 1024
    .name:           _ZN9rocsolver6v33100L8set_diagI19rocblas_complex_numIfEifPKPS3_TnNSt9enable_ifIXaa18rocblas_is_complexIT_Ent18rocblas_is_complexIT1_EEiE4typeELi0EEEvPS9_llT2_lT0_lSE_b
    .private_segment_fixed_size: 0
    .sgpr_count:     23
    .sgpr_spill_count: 0
    .symbol:         _ZN9rocsolver6v33100L8set_diagI19rocblas_complex_numIfEifPKPS3_TnNSt9enable_ifIXaa18rocblas_is_complexIT_Ent18rocblas_is_complexIT1_EEiE4typeELi0EEEvPS9_llT2_lT0_lSE_b.kd
    .uniform_work_group_size: 1
    .uses_dynamic_stack: false
    .vgpr_count:     6
    .vgpr_spill_count: 0
    .wavefront_size: 64
  - .agpr_count:     0
    .args:
      - .address_space:  global
        .offset:         0
        .size:           8
        .value_kind:     global_buffer
      - .offset:         8
        .size:           8
        .value_kind:     by_value
      - .address_space:  global
        .offset:         16
        .size:           8
        .value_kind:     global_buffer
      - .address_space:  global
        .offset:         24
        .size:           8
        .value_kind:     global_buffer
      - .offset:         32
        .size:           8
        .value_kind:     by_value
      - .offset:         40
        .size:           8
        .value_kind:     by_value
      - .address_space:  global
        .offset:         48
        .size:           8
        .value_kind:     global_buffer
      - .offset:         56
        .size:           8
        .value_kind:     by_value
      - .offset:         64
        .size:           8
        .value_kind:     by_value
    .group_segment_fixed_size: 0
    .kernarg_segment_align: 8
    .kernarg_segment_size: 72
    .language:       OpenCL C
    .language_version:
      - 2
      - 0
    .max_flat_workgroup_size: 1024
    .name:           _ZN9rocsolver6v33100L11set_taubetaI19rocblas_complex_numIfEifPKPS3_EEvPT_lS8_T2_llPT1_ll
    .private_segment_fixed_size: 0
    .sgpr_count:     28
    .sgpr_spill_count: 0
    .symbol:         _ZN9rocsolver6v33100L11set_taubetaI19rocblas_complex_numIfEifPKPS3_EEvPT_lS8_T2_llPT1_ll.kd
    .uniform_work_group_size: 1
    .uses_dynamic_stack: false
    .vgpr_count:     8
    .vgpr_spill_count: 0
    .wavefront_size: 64
  - .agpr_count:     0
    .args:
      - .address_space:  global
        .offset:         0
        .size:           8
        .value_kind:     global_buffer
      - .offset:         8
        .size:           8
        .value_kind:     by_value
      - .offset:         16
        .size:           8
        .value_kind:     by_value
      - .address_space:  global
        .offset:         24
        .size:           8
        .value_kind:     global_buffer
      - .offset:         32
        .size:           8
        .value_kind:     by_value
      - .offset:         40
        .size:           4
        .value_kind:     by_value
      - .offset:         48
        .size:           8
        .value_kind:     by_value
      - .offset:         56
        .size:           4
        .value_kind:     by_value
      - .offset:         60
        .size:           1
        .value_kind:     by_value
      - .offset:         64
        .size:           4
        .value_kind:     hidden_block_count_x
      - .offset:         68
        .size:           4
        .value_kind:     hidden_block_count_y
      - .offset:         72
        .size:           4
        .value_kind:     hidden_block_count_z
      - .offset:         76
        .size:           2
        .value_kind:     hidden_group_size_x
      - .offset:         78
        .size:           2
        .value_kind:     hidden_group_size_y
      - .offset:         80
        .size:           2
        .value_kind:     hidden_group_size_z
      - .offset:         82
        .size:           2
        .value_kind:     hidden_remainder_x
      - .offset:         84
        .size:           2
        .value_kind:     hidden_remainder_y
      - .offset:         86
        .size:           2
        .value_kind:     hidden_remainder_z
      - .offset:         104
        .size:           8
        .value_kind:     hidden_global_offset_x
      - .offset:         112
        .size:           8
        .value_kind:     hidden_global_offset_y
      - .offset:         120
        .size:           8
        .value_kind:     hidden_global_offset_z
      - .offset:         128
        .size:           2
        .value_kind:     hidden_grid_dims
    .group_segment_fixed_size: 0
    .kernarg_segment_align: 8
    .kernarg_segment_size: 320
    .language:       OpenCL C
    .language_version:
      - 2
      - 0
    .max_flat_workgroup_size: 1024
    .name:           _ZN9rocsolver6v33100L8set_diagI19rocblas_complex_numIfEiS3_PKPS3_TnNSt9enable_ifIXoont18rocblas_is_complexIT_E18rocblas_is_complexIT1_EEiE4typeELi0EEEvPS9_llT2_lT0_lSE_b
    .private_segment_fixed_size: 0
    .sgpr_count:     23
    .sgpr_spill_count: 0
    .symbol:         _ZN9rocsolver6v33100L8set_diagI19rocblas_complex_numIfEiS3_PKPS3_TnNSt9enable_ifIXoont18rocblas_is_complexIT_E18rocblas_is_complexIT1_EEiE4typeELi0EEEvPS9_llT2_lT0_lSE_b.kd
    .uniform_work_group_size: 1
    .uses_dynamic_stack: false
    .vgpr_count:     7
    .vgpr_spill_count: 0
    .wavefront_size: 64
  - .agpr_count:     0
    .args:
      - .offset:         0
        .size:           4
        .value_kind:     by_value
      - .offset:         4
        .size:           4
        .value_kind:     by_value
      - .address_space:  global
        .offset:         8
        .size:           8
        .value_kind:     global_buffer
      - .offset:         16
        .size:           8
        .value_kind:     by_value
      - .offset:         24
        .size:           4
        .value_kind:     by_value
      - .offset:         32
        .size:           8
        .value_kind:     by_value
      - .offset:         40
        .size:           4
        .value_kind:     hidden_block_count_x
      - .offset:         44
        .size:           4
        .value_kind:     hidden_block_count_y
      - .offset:         48
        .size:           4
        .value_kind:     hidden_block_count_z
      - .offset:         52
        .size:           2
        .value_kind:     hidden_group_size_x
      - .offset:         54
        .size:           2
        .value_kind:     hidden_group_size_y
      - .offset:         56
        .size:           2
        .value_kind:     hidden_group_size_z
      - .offset:         58
        .size:           2
        .value_kind:     hidden_remainder_x
      - .offset:         60
        .size:           2
        .value_kind:     hidden_remainder_y
      - .offset:         62
        .size:           2
        .value_kind:     hidden_remainder_z
      - .offset:         80
        .size:           8
        .value_kind:     hidden_global_offset_x
      - .offset:         88
        .size:           8
        .value_kind:     hidden_global_offset_y
      - .offset:         96
        .size:           8
        .value_kind:     hidden_global_offset_z
      - .offset:         104
        .size:           2
        .value_kind:     hidden_grid_dims
    .group_segment_fixed_size: 0
    .kernarg_segment_align: 8
    .kernarg_segment_size: 296
    .language:       OpenCL C
    .language_version:
      - 2
      - 0
    .max_flat_workgroup_size: 1024
    .name:           _ZN9rocsolver6v33100L13conj_in_placeI19rocblas_complex_numIfEiPS3_TnNSt9enable_ifIX18rocblas_is_complexIT_EEiE4typeELi0EEEvT0_S9_T1_lS9_l
    .private_segment_fixed_size: 0
    .sgpr_count:     14
    .sgpr_spill_count: 0
    .symbol:         _ZN9rocsolver6v33100L13conj_in_placeI19rocblas_complex_numIfEiPS3_TnNSt9enable_ifIX18rocblas_is_complexIT_EEiE4typeELi0EEEvT0_S9_T1_lS9_l.kd
    .uniform_work_group_size: 1
    .uses_dynamic_stack: false
    .vgpr_count:     7
    .vgpr_spill_count: 0
    .wavefront_size: 64
  - .agpr_count:     0
    .args:
      - .offset:         0
        .size:           4
        .value_kind:     by_value
      - .offset:         4
        .size:           4
        .value_kind:     by_value
      - .address_space:  global
        .offset:         8
        .size:           8
        .value_kind:     global_buffer
      - .offset:         16
        .size:           8
        .value_kind:     by_value
      - .offset:         24
        .size:           4
        .value_kind:     by_value
      - .offset:         32
        .size:           8
        .value_kind:     by_value
      - .address_space:  global
        .offset:         40
        .size:           8
        .value_kind:     global_buffer
      - .offset:         48
        .size:           8
        .value_kind:     by_value
      - .address_space:  global
        .offset:         56
        .size:           8
        .value_kind:     global_buffer
      - .offset:         64
        .size:           8
        .value_kind:     by_value
      - .offset:         72
        .size:           4
        .value_kind:     by_value
      - .offset:         80
        .size:           8
        .value_kind:     by_value
    .group_segment_fixed_size: 0
    .kernarg_segment_align: 8
    .kernarg_segment_size: 88
    .language:       OpenCL C
    .language_version:
      - 2
      - 0
    .max_flat_workgroup_size: 1024
    .name:           _ZN9rocsolver6v33100L16larf_left_kernelILi1024E19rocblas_complex_numIfEiPKPS3_EEvT1_S7_T2_lS7_lPKT0_lS8_lS7_l
    .private_segment_fixed_size: 0
    .sgpr_count:     32
    .sgpr_spill_count: 0
    .symbol:         _ZN9rocsolver6v33100L16larf_left_kernelILi1024E19rocblas_complex_numIfEiPKPS3_EEvT1_S7_T2_lS7_lPKT0_lS8_lS7_l.kd
    .uniform_work_group_size: 1
    .uses_dynamic_stack: false
    .vgpr_count:     30
    .vgpr_spill_count: 0
    .wavefront_size: 64
  - .agpr_count:     0
    .args:
      - .offset:         0
        .size:           4
        .value_kind:     by_value
      - .offset:         4
        .size:           4
        .value_kind:     by_value
      - .address_space:  global
        .offset:         8
        .size:           8
        .value_kind:     global_buffer
      - .offset:         16
        .size:           8
        .value_kind:     by_value
      - .offset:         24
        .size:           4
        .value_kind:     by_value
      - .offset:         32
        .size:           8
        .value_kind:     by_value
      - .address_space:  global
        .offset:         40
        .size:           8
        .value_kind:     global_buffer
      - .offset:         48
        .size:           8
        .value_kind:     by_value
      - .address_space:  global
        .offset:         56
        .size:           8
        .value_kind:     global_buffer
      - .offset:         64
        .size:           8
        .value_kind:     by_value
      - .offset:         72
        .size:           4
        .value_kind:     by_value
      - .offset:         80
        .size:           8
        .value_kind:     by_value
    .group_segment_fixed_size: 0
    .kernarg_segment_align: 8
    .kernarg_segment_size: 88
    .language:       OpenCL C
    .language_version:
      - 2
      - 0
    .max_flat_workgroup_size: 1024
    .name:           _ZN9rocsolver6v33100L17larf_right_kernelILi1024E19rocblas_complex_numIfEiPKPS3_EEvT1_S7_T2_lS7_lPKT0_lS8_lS7_l
    .private_segment_fixed_size: 0
    .sgpr_count:     32
    .sgpr_spill_count: 0
    .symbol:         _ZN9rocsolver6v33100L17larf_right_kernelILi1024E19rocblas_complex_numIfEiPKPS3_EEvT1_S7_T2_lS7_lPKT0_lS8_lS7_l.kd
    .uniform_work_group_size: 1
    .uses_dynamic_stack: false
    .vgpr_count:     21
    .vgpr_spill_count: 0
    .wavefront_size: 64
  - .agpr_count:     0
    .args:
      - .address_space:  global
        .offset:         0
        .size:           8
        .value_kind:     global_buffer
      - .address_space:  global
        .offset:         8
        .size:           8
        .value_kind:     global_buffer
      - .offset:         16
        .size:           8
        .value_kind:     by_value
      - .offset:         24
        .size:           4
        .value_kind:     by_value
      - .offset:         32
        .size:           4
        .value_kind:     hidden_block_count_x
      - .offset:         36
        .size:           4
        .value_kind:     hidden_block_count_y
      - .offset:         40
        .size:           4
        .value_kind:     hidden_block_count_z
      - .offset:         44
        .size:           2
        .value_kind:     hidden_group_size_x
      - .offset:         46
        .size:           2
        .value_kind:     hidden_group_size_y
      - .offset:         48
        .size:           2
        .value_kind:     hidden_group_size_z
      - .offset:         50
        .size:           2
        .value_kind:     hidden_remainder_x
      - .offset:         52
        .size:           2
        .value_kind:     hidden_remainder_y
      - .offset:         54
        .size:           2
        .value_kind:     hidden_remainder_z
      - .offset:         72
        .size:           8
        .value_kind:     hidden_global_offset_x
      - .offset:         80
        .size:           8
        .value_kind:     hidden_global_offset_y
      - .offset:         88
        .size:           8
        .value_kind:     hidden_global_offset_z
      - .offset:         96
        .size:           2
        .value_kind:     hidden_grid_dims
    .group_segment_fixed_size: 0
    .kernarg_segment_align: 8
    .kernarg_segment_size: 288
    .language:       OpenCL C
    .language_version:
      - 2
      - 0
    .max_flat_workgroup_size: 1024
    .name:           _ZN9rocsolver6v33100L9get_arrayI19rocblas_complex_numIfEiEEvPPT_S5_lT0_
    .private_segment_fixed_size: 0
    .sgpr_count:     12
    .sgpr_spill_count: 0
    .symbol:         _ZN9rocsolver6v33100L9get_arrayI19rocblas_complex_numIfEiEEvPPT_S5_lT0_.kd
    .uniform_work_group_size: 1
    .uses_dynamic_stack: false
    .vgpr_count:     6
    .vgpr_spill_count: 0
    .wavefront_size: 64
  - .agpr_count:     0
    .args:
      - .address_space:  global
        .offset:         0
        .size:           8
        .value_kind:     global_buffer
      - .offset:         8
        .size:           8
        .value_kind:     by_value
      - .offset:         16
        .size:           8
        .value_kind:     by_value
      - .address_space:  global
        .offset:         24
        .size:           8
        .value_kind:     global_buffer
      - .offset:         32
        .size:           8
        .value_kind:     by_value
      - .offset:         40
        .size:           4
        .value_kind:     by_value
      - .offset:         48
        .size:           8
        .value_kind:     by_value
      - .offset:         56
        .size:           4
        .value_kind:     by_value
      - .offset:         64
        .size:           4
        .value_kind:     hidden_block_count_x
      - .offset:         68
        .size:           4
        .value_kind:     hidden_block_count_y
      - .offset:         72
        .size:           4
        .value_kind:     hidden_block_count_z
      - .offset:         76
        .size:           2
        .value_kind:     hidden_group_size_x
      - .offset:         78
        .size:           2
        .value_kind:     hidden_group_size_y
      - .offset:         80
        .size:           2
        .value_kind:     hidden_group_size_z
      - .offset:         82
        .size:           2
        .value_kind:     hidden_remainder_x
      - .offset:         84
        .size:           2
        .value_kind:     hidden_remainder_y
      - .offset:         86
        .size:           2
        .value_kind:     hidden_remainder_z
      - .offset:         104
        .size:           8
        .value_kind:     hidden_global_offset_x
      - .offset:         112
        .size:           8
        .value_kind:     hidden_global_offset_y
      - .offset:         120
        .size:           8
        .value_kind:     hidden_global_offset_z
      - .offset:         128
        .size:           2
        .value_kind:     hidden_grid_dims
    .group_segment_fixed_size: 0
    .kernarg_segment_align: 8
    .kernarg_segment_size: 320
    .language:       OpenCL C
    .language_version:
      - 2
      - 0
    .max_flat_workgroup_size: 1024
    .name:           _ZN9rocsolver6v33100L12restore_diagI19rocblas_complex_numIfEiS3_PKPS3_EEvPT1_llT2_lT0_lSA_
    .private_segment_fixed_size: 0
    .sgpr_count:     21
    .sgpr_spill_count: 0
    .symbol:         _ZN9rocsolver6v33100L12restore_diagI19rocblas_complex_numIfEiS3_PKPS3_EEvPT1_llT2_lT0_lSA_.kd
    .uniform_work_group_size: 1
    .uses_dynamic_stack: false
    .vgpr_count:     5
    .vgpr_spill_count: 0
    .wavefront_size: 64
  - .agpr_count:     0
    .args:
      - .address_space:  global
        .offset:         0
        .size:           8
        .value_kind:     global_buffer
      - .offset:         8
        .size:           4
        .value_kind:     by_value
      - .offset:         16
        .size:           16
        .value_kind:     by_value
    .group_segment_fixed_size: 0
    .kernarg_segment_align: 8
    .kernarg_segment_size: 32
    .language:       OpenCL C
    .language_version:
      - 2
      - 0
    .max_flat_workgroup_size: 32
    .name:           _ZN9rocsolver6v33100L6iota_nI19rocblas_complex_numIdEEEvPT_jS4_
    .private_segment_fixed_size: 0
    .sgpr_count:     12
    .sgpr_spill_count: 0
    .symbol:         _ZN9rocsolver6v33100L6iota_nI19rocblas_complex_numIdEEEvPT_jS4_.kd
    .uniform_work_group_size: 1
    .uses_dynamic_stack: false
    .vgpr_count:     5
    .vgpr_spill_count: 0
    .wavefront_size: 64
  - .agpr_count:     0
    .args:
      - .address_space:  global
        .offset:         0
        .size:           8
        .value_kind:     global_buffer
      - .offset:         8
        .size:           8
        .value_kind:     by_value
      - .offset:         16
        .size:           4
        .value_kind:     by_value
      - .offset:         20
        .size:           4
        .value_kind:     by_value
      - .offset:         24
        .size:           4
        .value_kind:     hidden_block_count_x
      - .offset:         28
        .size:           4
        .value_kind:     hidden_block_count_y
      - .offset:         32
        .size:           4
        .value_kind:     hidden_block_count_z
      - .offset:         36
        .size:           2
        .value_kind:     hidden_group_size_x
      - .offset:         38
        .size:           2
        .value_kind:     hidden_group_size_y
      - .offset:         40
        .size:           2
        .value_kind:     hidden_group_size_z
      - .offset:         42
        .size:           2
        .value_kind:     hidden_remainder_x
      - .offset:         44
        .size:           2
        .value_kind:     hidden_remainder_y
      - .offset:         46
        .size:           2
        .value_kind:     hidden_remainder_z
      - .offset:         64
        .size:           8
        .value_kind:     hidden_global_offset_x
      - .offset:         72
        .size:           8
        .value_kind:     hidden_global_offset_y
      - .offset:         80
        .size:           8
        .value_kind:     hidden_global_offset_z
      - .offset:         88
        .size:           2
        .value_kind:     hidden_grid_dims
    .group_segment_fixed_size: 0
    .kernarg_segment_align: 8
    .kernarg_segment_size: 280
    .language:       OpenCL C
    .language_version:
      - 2
      - 0
    .max_flat_workgroup_size: 1024
    .name:           _ZN9rocsolver6v33100L16reset_batch_infoI19rocblas_complex_numIdEiiPS3_EEvT2_lT0_T1_
    .private_segment_fixed_size: 0
    .sgpr_count:     16
    .sgpr_spill_count: 0
    .symbol:         _ZN9rocsolver6v33100L16reset_batch_infoI19rocblas_complex_numIdEiiPS3_EEvT2_lT0_T1_.kd
    .uniform_work_group_size: 1
    .uses_dynamic_stack: false
    .vgpr_count:     6
    .vgpr_spill_count: 0
    .wavefront_size: 64
  - .agpr_count:     0
    .args:
      - .address_space:  global
        .offset:         0
        .size:           8
        .value_kind:     global_buffer
      - .offset:         8
        .size:           8
        .value_kind:     by_value
      - .offset:         16
        .size:           8
        .value_kind:     by_value
      - .address_space:  global
        .offset:         24
        .size:           8
        .value_kind:     global_buffer
      - .offset:         32
        .size:           8
        .value_kind:     by_value
      - .offset:         40
        .size:           4
        .value_kind:     by_value
      - .offset:         48
        .size:           8
        .value_kind:     by_value
      - .offset:         56
        .size:           4
        .value_kind:     by_value
      - .offset:         60
        .size:           1
        .value_kind:     by_value
      - .offset:         64
        .size:           4
        .value_kind:     hidden_block_count_x
      - .offset:         68
        .size:           4
        .value_kind:     hidden_block_count_y
      - .offset:         72
        .size:           4
        .value_kind:     hidden_block_count_z
      - .offset:         76
        .size:           2
        .value_kind:     hidden_group_size_x
      - .offset:         78
        .size:           2
        .value_kind:     hidden_group_size_y
      - .offset:         80
        .size:           2
        .value_kind:     hidden_group_size_z
      - .offset:         82
        .size:           2
        .value_kind:     hidden_remainder_x
      - .offset:         84
        .size:           2
        .value_kind:     hidden_remainder_y
      - .offset:         86
        .size:           2
        .value_kind:     hidden_remainder_z
      - .offset:         104
        .size:           8
        .value_kind:     hidden_global_offset_x
      - .offset:         112
        .size:           8
        .value_kind:     hidden_global_offset_y
      - .offset:         120
        .size:           8
        .value_kind:     hidden_global_offset_z
      - .offset:         128
        .size:           2
        .value_kind:     hidden_grid_dims
    .group_segment_fixed_size: 0
    .kernarg_segment_align: 8
    .kernarg_segment_size: 320
    .language:       OpenCL C
    .language_version:
      - 2
      - 0
    .max_flat_workgroup_size: 1024
    .name:           _ZN9rocsolver6v33100L8set_diagI19rocblas_complex_numIdEidPKPS3_TnNSt9enable_ifIXaa18rocblas_is_complexIT_Ent18rocblas_is_complexIT1_EEiE4typeELi0EEEvPS9_llT2_lT0_lSE_b
    .private_segment_fixed_size: 0
    .sgpr_count:     23
    .sgpr_spill_count: 0
    .symbol:         _ZN9rocsolver6v33100L8set_diagI19rocblas_complex_numIdEidPKPS3_TnNSt9enable_ifIXaa18rocblas_is_complexIT_Ent18rocblas_is_complexIT1_EEiE4typeELi0EEEvPS9_llT2_lT0_lSE_b.kd
    .uniform_work_group_size: 1
    .uses_dynamic_stack: false
    .vgpr_count:     7
    .vgpr_spill_count: 0
    .wavefront_size: 64
  - .agpr_count:     0
    .args:
      - .address_space:  global
        .offset:         0
        .size:           8
        .value_kind:     global_buffer
      - .offset:         8
        .size:           8
        .value_kind:     by_value
      - .address_space:  global
        .offset:         16
        .size:           8
        .value_kind:     global_buffer
      - .address_space:  global
        .offset:         24
        .size:           8
        .value_kind:     global_buffer
      - .offset:         32
        .size:           8
        .value_kind:     by_value
      - .offset:         40
        .size:           8
        .value_kind:     by_value
      - .address_space:  global
        .offset:         48
        .size:           8
        .value_kind:     global_buffer
      - .offset:         56
        .size:           8
        .value_kind:     by_value
      - .offset:         64
        .size:           8
        .value_kind:     by_value
    .group_segment_fixed_size: 0
    .kernarg_segment_align: 8
    .kernarg_segment_size: 72
    .language:       OpenCL C
    .language_version:
      - 2
      - 0
    .max_flat_workgroup_size: 1024
    .name:           _ZN9rocsolver6v33100L11set_taubetaI19rocblas_complex_numIdEidPKPS3_EEvPT_lS8_T2_llPT1_ll
    .private_segment_fixed_size: 0
    .sgpr_count:     26
    .sgpr_spill_count: 0
    .symbol:         _ZN9rocsolver6v33100L11set_taubetaI19rocblas_complex_numIdEidPKPS3_EEvPT_lS8_T2_llPT1_ll.kd
    .uniform_work_group_size: 1
    .uses_dynamic_stack: false
    .vgpr_count:     16
    .vgpr_spill_count: 0
    .wavefront_size: 64
  - .agpr_count:     0
    .args:
      - .address_space:  global
        .offset:         0
        .size:           8
        .value_kind:     global_buffer
      - .offset:         8
        .size:           8
        .value_kind:     by_value
      - .offset:         16
        .size:           8
        .value_kind:     by_value
      - .address_space:  global
        .offset:         24
        .size:           8
        .value_kind:     global_buffer
      - .offset:         32
        .size:           8
        .value_kind:     by_value
      - .offset:         40
        .size:           4
        .value_kind:     by_value
      - .offset:         48
        .size:           8
        .value_kind:     by_value
      - .offset:         56
        .size:           4
        .value_kind:     by_value
      - .offset:         60
        .size:           1
        .value_kind:     by_value
      - .offset:         64
        .size:           4
        .value_kind:     hidden_block_count_x
      - .offset:         68
        .size:           4
        .value_kind:     hidden_block_count_y
      - .offset:         72
        .size:           4
        .value_kind:     hidden_block_count_z
      - .offset:         76
        .size:           2
        .value_kind:     hidden_group_size_x
      - .offset:         78
        .size:           2
        .value_kind:     hidden_group_size_y
      - .offset:         80
        .size:           2
        .value_kind:     hidden_group_size_z
      - .offset:         82
        .size:           2
        .value_kind:     hidden_remainder_x
      - .offset:         84
        .size:           2
        .value_kind:     hidden_remainder_y
      - .offset:         86
        .size:           2
        .value_kind:     hidden_remainder_z
      - .offset:         104
        .size:           8
        .value_kind:     hidden_global_offset_x
      - .offset:         112
        .size:           8
        .value_kind:     hidden_global_offset_y
      - .offset:         120
        .size:           8
        .value_kind:     hidden_global_offset_z
      - .offset:         128
        .size:           2
        .value_kind:     hidden_grid_dims
    .group_segment_fixed_size: 0
    .kernarg_segment_align: 8
    .kernarg_segment_size: 320
    .language:       OpenCL C
    .language_version:
      - 2
      - 0
    .max_flat_workgroup_size: 1024
    .name:           _ZN9rocsolver6v33100L8set_diagI19rocblas_complex_numIdEiS3_PKPS3_TnNSt9enable_ifIXoont18rocblas_is_complexIT_E18rocblas_is_complexIT1_EEiE4typeELi0EEEvPS9_llT2_lT0_lSE_b
    .private_segment_fixed_size: 0
    .sgpr_count:     23
    .sgpr_spill_count: 0
    .symbol:         _ZN9rocsolver6v33100L8set_diagI19rocblas_complex_numIdEiS3_PKPS3_TnNSt9enable_ifIXoont18rocblas_is_complexIT_E18rocblas_is_complexIT1_EEiE4typeELi0EEEvPS9_llT2_lT0_lSE_b.kd
    .uniform_work_group_size: 1
    .uses_dynamic_stack: false
    .vgpr_count:     10
    .vgpr_spill_count: 0
    .wavefront_size: 64
  - .agpr_count:     0
    .args:
      - .offset:         0
        .size:           4
        .value_kind:     by_value
      - .offset:         4
        .size:           4
        .value_kind:     by_value
      - .address_space:  global
        .offset:         8
        .size:           8
        .value_kind:     global_buffer
      - .offset:         16
        .size:           8
        .value_kind:     by_value
      - .offset:         24
        .size:           4
        .value_kind:     by_value
      - .offset:         32
        .size:           8
        .value_kind:     by_value
      - .offset:         40
        .size:           4
        .value_kind:     hidden_block_count_x
      - .offset:         44
        .size:           4
        .value_kind:     hidden_block_count_y
      - .offset:         48
        .size:           4
        .value_kind:     hidden_block_count_z
      - .offset:         52
        .size:           2
        .value_kind:     hidden_group_size_x
      - .offset:         54
        .size:           2
        .value_kind:     hidden_group_size_y
      - .offset:         56
        .size:           2
        .value_kind:     hidden_group_size_z
      - .offset:         58
        .size:           2
        .value_kind:     hidden_remainder_x
      - .offset:         60
        .size:           2
        .value_kind:     hidden_remainder_y
      - .offset:         62
        .size:           2
        .value_kind:     hidden_remainder_z
      - .offset:         80
        .size:           8
        .value_kind:     hidden_global_offset_x
      - .offset:         88
        .size:           8
        .value_kind:     hidden_global_offset_y
      - .offset:         96
        .size:           8
        .value_kind:     hidden_global_offset_z
      - .offset:         104
        .size:           2
        .value_kind:     hidden_grid_dims
    .group_segment_fixed_size: 0
    .kernarg_segment_align: 8
    .kernarg_segment_size: 296
    .language:       OpenCL C
    .language_version:
      - 2
      - 0
    .max_flat_workgroup_size: 1024
    .name:           _ZN9rocsolver6v33100L13conj_in_placeI19rocblas_complex_numIdEiPS3_TnNSt9enable_ifIX18rocblas_is_complexIT_EEiE4typeELi0EEEvT0_S9_T1_lS9_l
    .private_segment_fixed_size: 0
    .sgpr_count:     14
    .sgpr_spill_count: 0
    .symbol:         _ZN9rocsolver6v33100L13conj_in_placeI19rocblas_complex_numIdEiPS3_TnNSt9enable_ifIX18rocblas_is_complexIT_EEiE4typeELi0EEEvT0_S9_T1_lS9_l.kd
    .uniform_work_group_size: 1
    .uses_dynamic_stack: false
    .vgpr_count:     8
    .vgpr_spill_count: 0
    .wavefront_size: 64
  - .agpr_count:     0
    .args:
      - .offset:         0
        .size:           4
        .value_kind:     by_value
      - .offset:         4
        .size:           4
        .value_kind:     by_value
      - .address_space:  global
        .offset:         8
        .size:           8
        .value_kind:     global_buffer
      - .offset:         16
        .size:           8
        .value_kind:     by_value
      - .offset:         24
        .size:           4
        .value_kind:     by_value
      - .offset:         32
        .size:           8
        .value_kind:     by_value
      - .address_space:  global
        .offset:         40
        .size:           8
        .value_kind:     global_buffer
      - .offset:         48
        .size:           8
        .value_kind:     by_value
      - .address_space:  global
        .offset:         56
        .size:           8
        .value_kind:     global_buffer
      - .offset:         64
        .size:           8
        .value_kind:     by_value
      - .offset:         72
        .size:           4
        .value_kind:     by_value
      - .offset:         80
        .size:           8
        .value_kind:     by_value
    .group_segment_fixed_size: 0
    .kernarg_segment_align: 8
    .kernarg_segment_size: 88
    .language:       OpenCL C
    .language_version:
      - 2
      - 0
    .max_flat_workgroup_size: 1024
    .name:           _ZN9rocsolver6v33100L16larf_left_kernelILi1024E19rocblas_complex_numIdEiPKPS3_EEvT1_S7_T2_lS7_lPKT0_lS8_lS7_l
    .private_segment_fixed_size: 0
    .sgpr_count:     34
    .sgpr_spill_count: 0
    .symbol:         _ZN9rocsolver6v33100L16larf_left_kernelILi1024E19rocblas_complex_numIdEiPKPS3_EEvT1_S7_T2_lS7_lPKT0_lS8_lS7_l.kd
    .uniform_work_group_size: 1
    .uses_dynamic_stack: false
    .vgpr_count:     22
    .vgpr_spill_count: 0
    .wavefront_size: 64
  - .agpr_count:     0
    .args:
      - .offset:         0
        .size:           4
        .value_kind:     by_value
      - .offset:         4
        .size:           4
        .value_kind:     by_value
      - .address_space:  global
        .offset:         8
        .size:           8
        .value_kind:     global_buffer
      - .offset:         16
        .size:           8
        .value_kind:     by_value
      - .offset:         24
        .size:           4
        .value_kind:     by_value
      - .offset:         32
        .size:           8
        .value_kind:     by_value
      - .address_space:  global
        .offset:         40
        .size:           8
        .value_kind:     global_buffer
      - .offset:         48
        .size:           8
        .value_kind:     by_value
      - .address_space:  global
        .offset:         56
        .size:           8
        .value_kind:     global_buffer
      - .offset:         64
        .size:           8
        .value_kind:     by_value
      - .offset:         72
        .size:           4
        .value_kind:     by_value
      - .offset:         80
        .size:           8
        .value_kind:     by_value
    .group_segment_fixed_size: 0
    .kernarg_segment_align: 8
    .kernarg_segment_size: 88
    .language:       OpenCL C
    .language_version:
      - 2
      - 0
    .max_flat_workgroup_size: 1024
    .name:           _ZN9rocsolver6v33100L17larf_right_kernelILi1024E19rocblas_complex_numIdEiPKPS3_EEvT1_S7_T2_lS7_lPKT0_lS8_lS7_l
    .private_segment_fixed_size: 0
    .sgpr_count:     34
    .sgpr_spill_count: 0
    .symbol:         _ZN9rocsolver6v33100L17larf_right_kernelILi1024E19rocblas_complex_numIdEiPKPS3_EEvT1_S7_T2_lS7_lPKT0_lS8_lS7_l.kd
    .uniform_work_group_size: 1
    .uses_dynamic_stack: false
    .vgpr_count:     23
    .vgpr_spill_count: 0
    .wavefront_size: 64
  - .agpr_count:     0
    .args:
      - .address_space:  global
        .offset:         0
        .size:           8
        .value_kind:     global_buffer
      - .address_space:  global
        .offset:         8
        .size:           8
        .value_kind:     global_buffer
      - .offset:         16
        .size:           8
        .value_kind:     by_value
      - .offset:         24
        .size:           4
        .value_kind:     by_value
      - .offset:         32
        .size:           4
        .value_kind:     hidden_block_count_x
      - .offset:         36
        .size:           4
        .value_kind:     hidden_block_count_y
      - .offset:         40
        .size:           4
        .value_kind:     hidden_block_count_z
      - .offset:         44
        .size:           2
        .value_kind:     hidden_group_size_x
      - .offset:         46
        .size:           2
        .value_kind:     hidden_group_size_y
      - .offset:         48
        .size:           2
        .value_kind:     hidden_group_size_z
      - .offset:         50
        .size:           2
        .value_kind:     hidden_remainder_x
      - .offset:         52
        .size:           2
        .value_kind:     hidden_remainder_y
      - .offset:         54
        .size:           2
        .value_kind:     hidden_remainder_z
      - .offset:         72
        .size:           8
        .value_kind:     hidden_global_offset_x
      - .offset:         80
        .size:           8
        .value_kind:     hidden_global_offset_y
      - .offset:         88
        .size:           8
        .value_kind:     hidden_global_offset_z
      - .offset:         96
        .size:           2
        .value_kind:     hidden_grid_dims
    .group_segment_fixed_size: 0
    .kernarg_segment_align: 8
    .kernarg_segment_size: 288
    .language:       OpenCL C
    .language_version:
      - 2
      - 0
    .max_flat_workgroup_size: 1024
    .name:           _ZN9rocsolver6v33100L9get_arrayI19rocblas_complex_numIdEiEEvPPT_S5_lT0_
    .private_segment_fixed_size: 0
    .sgpr_count:     12
    .sgpr_spill_count: 0
    .symbol:         _ZN9rocsolver6v33100L9get_arrayI19rocblas_complex_numIdEiEEvPPT_S5_lT0_.kd
    .uniform_work_group_size: 1
    .uses_dynamic_stack: false
    .vgpr_count:     6
    .vgpr_spill_count: 0
    .wavefront_size: 64
  - .agpr_count:     0
    .args:
      - .address_space:  global
        .offset:         0
        .size:           8
        .value_kind:     global_buffer
      - .offset:         8
        .size:           8
        .value_kind:     by_value
      - .offset:         16
        .size:           8
        .value_kind:     by_value
      - .address_space:  global
        .offset:         24
        .size:           8
        .value_kind:     global_buffer
      - .offset:         32
        .size:           8
        .value_kind:     by_value
      - .offset:         40
        .size:           4
        .value_kind:     by_value
      - .offset:         48
        .size:           8
        .value_kind:     by_value
      - .offset:         56
        .size:           4
        .value_kind:     by_value
      - .offset:         64
        .size:           4
        .value_kind:     hidden_block_count_x
      - .offset:         68
        .size:           4
        .value_kind:     hidden_block_count_y
      - .offset:         72
        .size:           4
        .value_kind:     hidden_block_count_z
      - .offset:         76
        .size:           2
        .value_kind:     hidden_group_size_x
      - .offset:         78
        .size:           2
        .value_kind:     hidden_group_size_y
      - .offset:         80
        .size:           2
        .value_kind:     hidden_group_size_z
      - .offset:         82
        .size:           2
        .value_kind:     hidden_remainder_x
      - .offset:         84
        .size:           2
        .value_kind:     hidden_remainder_y
      - .offset:         86
        .size:           2
        .value_kind:     hidden_remainder_z
      - .offset:         104
        .size:           8
        .value_kind:     hidden_global_offset_x
      - .offset:         112
        .size:           8
        .value_kind:     hidden_global_offset_y
      - .offset:         120
        .size:           8
        .value_kind:     hidden_global_offset_z
      - .offset:         128
        .size:           2
        .value_kind:     hidden_grid_dims
    .group_segment_fixed_size: 0
    .kernarg_segment_align: 8
    .kernarg_segment_size: 320
    .language:       OpenCL C
    .language_version:
      - 2
      - 0
    .max_flat_workgroup_size: 1024
    .name:           _ZN9rocsolver6v33100L12restore_diagI19rocblas_complex_numIdEiS3_PKPS3_EEvPT1_llT2_lT0_lSA_
    .private_segment_fixed_size: 0
    .sgpr_count:     21
    .sgpr_spill_count: 0
    .symbol:         _ZN9rocsolver6v33100L12restore_diagI19rocblas_complex_numIdEiS3_PKPS3_EEvPT1_llT2_lT0_lSA_.kd
    .uniform_work_group_size: 1
    .uses_dynamic_stack: false
    .vgpr_count:     7
    .vgpr_spill_count: 0
    .wavefront_size: 64
amdhsa.target:   amdgcn-amd-amdhsa--gfx90a
amdhsa.version:
  - 1
  - 2
...

	.end_amdgpu_metadata
